;; amdgpu-corpus repo=ROCm/rocFFT kind=compiled arch=gfx1030 opt=O3
	.text
	.amdgcn_target "amdgcn-amd-amdhsa--gfx1030"
	.amdhsa_code_object_version 6
	.protected	bluestein_single_fwd_len325_dim1_half_op_CI_CI ; -- Begin function bluestein_single_fwd_len325_dim1_half_op_CI_CI
	.globl	bluestein_single_fwd_len325_dim1_half_op_CI_CI
	.p2align	8
	.type	bluestein_single_fwd_len325_dim1_half_op_CI_CI,@function
bluestein_single_fwd_len325_dim1_half_op_CI_CI: ; @bluestein_single_fwd_len325_dim1_half_op_CI_CI
; %bb.0:
	s_load_dwordx4 s[8:11], s[4:5], 0x28
	v_mul_u32_u24_e32 v1, 0x13b2, v0
	v_mov_b32_e32 v39, 0
	s_mov_b32 s0, exec_lo
	v_lshrrev_b32_e32 v4, 16, v1
	v_lshl_add_u32 v38, s6, 2, v4
	s_waitcnt lgkmcnt(0)
	v_cmpx_gt_u64_e64 s[8:9], v[38:39]
	s_cbranch_execz .LBB0_15
; %bb.1:
	s_clause 0x1
	s_load_dwordx4 s[0:3], s[4:5], 0x18
	s_load_dwordx2 s[16:17], s[4:5], 0x0
	v_mul_lo_u16 v1, v4, 13
	v_sub_nc_u16 v8, v0, v1
	v_and_b32_e32 v75, 0xffff, v8
	v_lshlrev_b32_e32 v52, 2, v75
	v_or_b32_e32 v63, 0x120, v75
	s_waitcnt lgkmcnt(0)
	s_load_dwordx4 s[12:15], s[0:1], 0x0
	global_load_dword v78, v52, s[16:17]
	s_waitcnt lgkmcnt(0)
	v_mad_u64_u32 v[0:1], null, s14, v38, 0
	v_mad_u64_u32 v[2:3], null, s12, v75, 0
	s_mul_i32 s1, s13, 25
	s_mul_hi_u32 s6, s12, 25
	s_mul_i32 s0, s12, 25
	s_add_i32 s1, s6, s1
	v_mad_u64_u32 v[5:6], null, s15, v38, v[1:2]
	v_mad_u64_u32 v[6:7], null, s13, v75, v[3:4]
	s_lshl_b64 s[14:15], s[0:1], 2
	v_and_b32_e32 v4, 3, v4
	v_add_co_u32 v36, s0, s16, v52
	v_mov_b32_e32 v1, v5
	v_add_co_ci_u32_e64 v37, null, s17, 0, s0
	v_mov_b32_e32 v3, v6
	v_mul_u32_u24_e32 v4, 0x145, v4
	v_lshlrev_b64 v[0:1], 2, v[0:1]
	v_lshlrev_b64 v[5:6], 2, v[2:3]
	v_lshlrev_b32_e32 v79, 2, v4
	v_add_co_u32 v2, vcc_lo, s10, v0
	v_add_co_ci_u32_e32 v3, vcc_lo, s11, v1, vcc_lo
	v_add_nc_u32_e32 v64, v79, v52
	v_add_co_u32 v0, vcc_lo, v2, v5
	v_add_co_ci_u32_e32 v1, vcc_lo, v3, v6, vcc_lo
	v_add_nc_u32_e32 v4, 0x200, v64
	v_add_co_u32 v5, vcc_lo, v0, s14
	v_add_co_ci_u32_e32 v6, vcc_lo, s15, v1, vcc_lo
	s_clause 0x1
	global_load_dword v7, v[0:1], off
	global_load_dword v9, v[5:6], off
	v_add_co_u32 v0, vcc_lo, v5, s14
	v_add_co_ci_u32_e32 v1, vcc_lo, s15, v6, vcc_lo
	v_add_co_u32 v5, vcc_lo, v0, s14
	v_add_co_ci_u32_e32 v6, vcc_lo, s15, v1, vcc_lo
	s_clause 0x1
	global_load_dword v77, v52, s[16:17] offset:100
	global_load_dword v76, v52, s[16:17] offset:200
	s_clause 0x1
	global_load_dword v10, v[0:1], off
	global_load_dword v11, v[5:6], off
	v_add_co_u32 v0, vcc_lo, v5, s14
	v_add_co_ci_u32_e32 v1, vcc_lo, s15, v6, vcc_lo
	s_clause 0x2
	global_load_dword v74, v52, s[16:17] offset:300
	global_load_dword v73, v52, s[16:17] offset:400
	;; [unrolled: 1-line block ×3, first 2 shown]
	v_add_co_u32 v5, vcc_lo, v0, s14
	v_add_co_ci_u32_e32 v6, vcc_lo, s15, v1, vcc_lo
	global_load_dword v12, v[0:1], off
	v_add_co_u32 v0, vcc_lo, v5, s14
	v_add_co_ci_u32_e32 v1, vcc_lo, s15, v6, vcc_lo
	global_load_dword v13, v[5:6], off
	v_add_co_u32 v5, vcc_lo, v0, s14
	v_add_co_ci_u32_e32 v6, vcc_lo, s15, v1, vcc_lo
	s_clause 0x1
	global_load_dword v71, v52, s[16:17] offset:600
	global_load_dword v70, v52, s[16:17] offset:700
	global_load_dword v14, v[0:1], off
	global_load_dword v15, v[5:6], off
	v_add_co_u32 v0, vcc_lo, v5, s14
	v_add_co_ci_u32_e32 v1, vcc_lo, s15, v6, vcc_lo
	s_clause 0x1
	global_load_dword v69, v52, s[16:17] offset:800
	global_load_dword v68, v52, s[16:17] offset:900
	v_add_co_u32 v5, vcc_lo, v0, s14
	v_add_co_ci_u32_e32 v6, vcc_lo, s15, v1, vcc_lo
	global_load_dword v16, v[0:1], off
	v_add_co_u32 v0, vcc_lo, v5, s14
	v_add_co_ci_u32_e32 v1, vcc_lo, s15, v6, vcc_lo
	global_load_dword v17, v[5:6], off
	;; [unrolled: 3-line block ×3, first 2 shown]
	v_add_co_u32 v0, vcc_lo, v5, s14
	v_add_co_ci_u32_e32 v1, vcc_lo, s15, v6, vcc_lo
	global_load_dword v67, v52, s[16:17] offset:1000
	global_load_dword v5, v[5:6], off
	global_load_dword v6, v[0:1], off
	s_clause 0x1
	global_load_dword v66, v52, s[16:17] offset:1100
	global_load_dword v65, v52, s[16:17] offset:1200
	s_load_dwordx2 s[6:7], s[4:5], 0x38
	s_load_dwordx4 s[8:11], s[2:3], 0x0
	v_cmp_gt_u16_e32 vcc_lo, 12, v8
	s_waitcnt vmcnt(24)
	v_lshrrev_b32_e32 v19, 16, v7
	v_mul_f16_sdwa v20, v78, v7 dst_sel:DWORD dst_unused:UNUSED_PAD src0_sel:WORD_1 src1_sel:DWORD
	s_waitcnt vmcnt(23)
	v_lshrrev_b32_e32 v22, 16, v9
	v_mul_f16_sdwa v21, v78, v19 dst_sel:DWORD dst_unused:UNUSED_PAD src0_sel:WORD_1 src1_sel:DWORD
	v_fma_f16 v19, v78, v19, -v20
	s_waitcnt vmcnt(22)
	v_mul_f16_sdwa v23, v77, v9 dst_sel:DWORD dst_unused:UNUSED_PAD src0_sel:WORD_1 src1_sel:DWORD
	v_fmac_f16_e32 v21, v78, v7
	v_mul_f16_sdwa v7, v77, v22 dst_sel:DWORD dst_unused:UNUSED_PAD src0_sel:WORD_1 src1_sel:DWORD
	s_waitcnt vmcnt(20)
	v_lshrrev_b32_e32 v20, 16, v10
	v_fma_f16 v22, v77, v22, -v23
	v_mul_f16_sdwa v23, v76, v10 dst_sel:DWORD dst_unused:UNUSED_PAD src0_sel:WORD_1 src1_sel:DWORD
	v_pack_b32_f16 v19, v21, v19
	v_fmac_f16_e32 v7, v77, v9
	v_mul_f16_sdwa v9, v76, v20 dst_sel:DWORD dst_unused:UNUSED_PAD src0_sel:WORD_1 src1_sel:DWORD
	s_waitcnt vmcnt(19)
	v_lshrrev_b32_e32 v21, 16, v11
	s_waitcnt vmcnt(18)
	v_mul_f16_sdwa v24, v74, v11 dst_sel:DWORD dst_unused:UNUSED_PAD src0_sel:WORD_1 src1_sel:DWORD
	v_fma_f16 v20, v76, v20, -v23
	v_pack_b32_f16 v7, v7, v22
	v_fmac_f16_e32 v9, v76, v10
	v_mul_f16_sdwa v10, v74, v21 dst_sel:DWORD dst_unused:UNUSED_PAD src0_sel:WORD_1 src1_sel:DWORD
	s_waitcnt vmcnt(15)
	v_lshrrev_b32_e32 v22, 16, v12
	v_fma_f16 v21, v74, v21, -v24
	v_mul_f16_sdwa v23, v73, v12 dst_sel:DWORD dst_unused:UNUSED_PAD src0_sel:WORD_1 src1_sel:DWORD
	ds_write2_b32 v64, v19, v7 offset1:25
	v_pack_b32_f16 v7, v9, v20
	v_fmac_f16_e32 v10, v74, v11
	v_mul_f16_sdwa v9, v73, v22 dst_sel:DWORD dst_unused:UNUSED_PAD src0_sel:WORD_1 src1_sel:DWORD
	s_waitcnt vmcnt(14)
	v_lshrrev_b32_e32 v11, 16, v13
	v_mul_f16_sdwa v19, v72, v13 dst_sel:DWORD dst_unused:UNUSED_PAD src0_sel:WORD_1 src1_sel:DWORD
	v_fma_f16 v20, v73, v22, -v23
	v_pack_b32_f16 v10, v10, v21
	v_fmac_f16_e32 v9, v73, v12
	v_mul_f16_sdwa v12, v72, v11 dst_sel:DWORD dst_unused:UNUSED_PAD src0_sel:WORD_1 src1_sel:DWORD
	v_fma_f16 v11, v72, v11, -v19
	s_waitcnt vmcnt(11)
	v_lshrrev_b32_e32 v19, 16, v14
	v_mul_f16_sdwa v21, v71, v14 dst_sel:DWORD dst_unused:UNUSED_PAD src0_sel:WORD_1 src1_sel:DWORD
	ds_write2_b32 v64, v7, v10 offset0:50 offset1:75
	v_pack_b32_f16 v7, v9, v20
	v_fmac_f16_e32 v12, v72, v13
	v_mul_f16_sdwa v9, v71, v19 dst_sel:DWORD dst_unused:UNUSED_PAD src0_sel:WORD_1 src1_sel:DWORD
	s_waitcnt vmcnt(10)
	v_lshrrev_b32_e32 v10, 16, v15
	v_mul_f16_sdwa v13, v70, v15 dst_sel:DWORD dst_unused:UNUSED_PAD src0_sel:WORD_1 src1_sel:DWORD
	v_fma_f16 v19, v71, v19, -v21
	v_pack_b32_f16 v11, v12, v11
	v_fmac_f16_e32 v9, v71, v14
	v_mul_f16_sdwa v12, v70, v10 dst_sel:DWORD dst_unused:UNUSED_PAD src0_sel:WORD_1 src1_sel:DWORD
	v_fma_f16 v10, v70, v10, -v13
	s_waitcnt vmcnt(7)
	v_lshrrev_b32_e32 v13, 16, v16
	v_mul_f16_sdwa v14, v69, v16 dst_sel:DWORD dst_unused:UNUSED_PAD src0_sel:WORD_1 src1_sel:DWORD
	ds_write2_b32 v64, v7, v11 offset0:100 offset1:125
	v_pack_b32_f16 v7, v9, v19
	v_fmac_f16_e32 v12, v70, v15
	s_waitcnt vmcnt(6)
	v_lshrrev_b32_e32 v9, 16, v17
	v_mul_f16_sdwa v11, v69, v13 dst_sel:DWORD dst_unused:UNUSED_PAD src0_sel:WORD_1 src1_sel:DWORD
	v_fma_f16 v13, v69, v13, -v14
	v_mul_f16_sdwa v14, v68, v17 dst_sel:DWORD dst_unused:UNUSED_PAD src0_sel:WORD_1 src1_sel:DWORD
	v_pack_b32_f16 v10, v12, v10
	v_mul_f16_sdwa v12, v68, v9 dst_sel:DWORD dst_unused:UNUSED_PAD src0_sel:WORD_1 src1_sel:DWORD
	v_fmac_f16_e32 v11, v69, v16
	s_waitcnt vmcnt(5)
	v_lshrrev_b32_e32 v15, 16, v18
	v_fma_f16 v9, v68, v9, -v14
	s_waitcnt vmcnt(4)
	v_mul_f16_sdwa v14, v67, v18 dst_sel:DWORD dst_unused:UNUSED_PAD src0_sel:WORD_1 src1_sel:DWORD
	s_waitcnt vmcnt(3)
	v_lshrrev_b32_e32 v16, 16, v5
	s_waitcnt vmcnt(2)
	v_lshrrev_b32_e32 v19, 16, v6
	v_fmac_f16_e32 v12, v68, v17
	v_mul_f16_sdwa v17, v67, v15 dst_sel:DWORD dst_unused:UNUSED_PAD src0_sel:WORD_1 src1_sel:DWORD
	v_fma_f16 v14, v67, v15, -v14
	s_waitcnt vmcnt(1)
	v_mul_f16_sdwa v15, v66, v5 dst_sel:DWORD dst_unused:UNUSED_PAD src0_sel:WORD_1 src1_sel:DWORD
	v_mul_f16_sdwa v20, v66, v16 dst_sel:DWORD dst_unused:UNUSED_PAD src0_sel:WORD_1 src1_sel:DWORD
	s_waitcnt vmcnt(0)
	v_mul_f16_sdwa v21, v65, v6 dst_sel:DWORD dst_unused:UNUSED_PAD src0_sel:WORD_1 src1_sel:DWORD
	v_mul_f16_sdwa v22, v65, v19 dst_sel:DWORD dst_unused:UNUSED_PAD src0_sel:WORD_1 src1_sel:DWORD
	v_fmac_f16_e32 v17, v67, v18
	v_fma_f16 v15, v66, v16, -v15
	v_fmac_f16_e32 v20, v66, v5
	v_fma_f16 v5, v65, v19, -v21
	v_fmac_f16_e32 v22, v65, v6
	v_pack_b32_f16 v6, v11, v13
	v_pack_b32_f16 v9, v12, v9
	;; [unrolled: 1-line block ×5, first 2 shown]
	ds_write2_b32 v64, v7, v10 offset0:150 offset1:175
	ds_write2_b32 v64, v6, v9 offset0:200 offset1:225
	;; [unrolled: 1-line block ×3, first 2 shown]
	ds_write_b32 v64, v5 offset:1200
	s_and_saveexec_b32 s1, vcc_lo
	s_cbranch_execz .LBB0_3
; %bb.2:
	v_mad_u64_u32 v[0:1], null, 0xfffffb84, s12, v[0:1]
	s_mul_i32 s0, s13, 0xfffffb84
	v_mad_u64_u32 v[5:6], null, s12, v63, 0
	s_sub_i32 s0, s0, s12
	v_add_nc_u32_e32 v1, s0, v1
	v_add_co_u32 v7, s0, v0, s14
	v_add_co_ci_u32_e64 v8, s0, s15, v1, s0
	v_add_co_u32 v9, s0, v7, s14
	v_mad_u64_u32 v[13:14], null, s13, v63, v[6:7]
	v_add_co_ci_u32_e64 v10, s0, s15, v8, s0
	v_add_co_u32 v11, s0, v9, s14
	global_load_dword v15, v[0:1], off
	v_add_co_ci_u32_e64 v12, s0, s15, v10, s0
	v_add_co_u32 v0, s0, v11, s14
	v_mov_b32_e32 v6, v13
	v_add_co_ci_u32_e64 v1, s0, s15, v12, s0
	global_load_dword v14, v[7:8], off
	global_load_dword v16, v[9:10], off
	;; [unrolled: 1-line block ×4, first 2 shown]
	v_add_co_u32 v0, s0, v0, s14
	v_add_co_ci_u32_e64 v1, s0, s15, v1, s0
	s_clause 0x4
	global_load_dword v19, v[36:37], off offset:52
	global_load_dword v20, v[36:37], off offset:152
	;; [unrolled: 1-line block ×5, first 2 shown]
	global_load_dword v24, v[0:1], off
	v_add_co_u32 v0, s0, v0, s14
	v_add_co_ci_u32_e64 v1, s0, s15, v1, s0
	v_lshlrev_b64 v[5:6], 2, v[5:6]
	v_add_co_u32 v7, s0, v0, s14
	v_add_co_ci_u32_e64 v8, s0, s15, v1, s0
	v_add_co_u32 v2, s0, v2, v5
	v_add_co_ci_u32_e64 v3, s0, v3, v6, s0
	v_add_co_u32 v5, s0, v7, s14
	v_add_co_ci_u32_e64 v6, s0, s15, v8, s0
	global_load_dword v13, v[2:3], off
	global_load_dword v25, v[36:37], off offset:1152
	v_add_co_u32 v2, s0, v5, s14
	v_add_co_ci_u32_e64 v3, s0, s15, v6, s0
	global_load_dword v26, v[36:37], off offset:552
	v_add_co_u32 v9, s0, v2, s14
	v_add_co_ci_u32_e64 v10, s0, s15, v3, s0
	global_load_dword v27, v[0:1], off
	global_load_dword v28, v[36:37], off offset:652
	global_load_dword v7, v[7:8], off
	global_load_dword v8, v[36:37], off offset:752
	v_mad_u64_u32 v[11:12], null, 0xc8, s12, v[9:10]
	v_mov_b32_e32 v0, v12
	v_mad_u64_u32 v[0:1], null, 0xc8, s13, v[0:1]
	global_load_dword v1, v[5:6], off
	global_load_dword v5, v[36:37], off offset:852
	global_load_dword v2, v[2:3], off
	v_mov_b32_e32 v12, v0
	global_load_dword v0, v[36:37], off offset:952
	global_load_dword v3, v[9:10], off
	global_load_dword v6, v[11:12], off
	s_clause 0x1
	global_load_dword v9, v[36:37], off offset:1052
	global_load_dword v10, v[36:37], off offset:1252
	s_waitcnt vmcnt(25)
	v_lshrrev_b32_e32 v11, 16, v15
	s_waitcnt vmcnt(24)
	v_lshrrev_b32_e32 v30, 16, v14
	s_waitcnt vmcnt(20)
	v_mul_f16_sdwa v12, v19, v15 dst_sel:DWORD dst_unused:UNUSED_PAD src0_sel:WORD_1 src1_sel:DWORD
	v_mul_f16_sdwa v29, v19, v11 dst_sel:DWORD dst_unused:UNUSED_PAD src0_sel:WORD_1 src1_sel:DWORD
	s_waitcnt vmcnt(19)
	v_mul_f16_sdwa v31, v20, v14 dst_sel:DWORD dst_unused:UNUSED_PAD src0_sel:WORD_1 src1_sel:DWORD
	v_fma_f16 v11, v19, v11, -v12
	v_fmac_f16_e32 v29, v19, v15
	v_mul_f16_sdwa v12, v20, v30 dst_sel:DWORD dst_unused:UNUSED_PAD src0_sel:WORD_1 src1_sel:DWORD
	v_lshrrev_b32_e32 v15, 16, v16
	v_fma_f16 v19, v20, v30, -v31
	s_waitcnt vmcnt(18)
	v_mul_f16_sdwa v30, v21, v16 dst_sel:DWORD dst_unused:UNUSED_PAD src0_sel:WORD_1 src1_sel:DWORD
	v_pack_b32_f16 v11, v29, v11
	v_fmac_f16_e32 v12, v20, v14
	v_mul_f16_sdwa v14, v21, v15 dst_sel:DWORD dst_unused:UNUSED_PAD src0_sel:WORD_1 src1_sel:DWORD
	v_lshrrev_b32_e32 v20, 16, v17
	s_waitcnt vmcnt(17)
	v_mul_f16_sdwa v29, v22, v17 dst_sel:DWORD dst_unused:UNUSED_PAD src0_sel:WORD_1 src1_sel:DWORD
	v_fma_f16 v15, v21, v15, -v30
	v_pack_b32_f16 v12, v12, v19
	v_fmac_f16_e32 v14, v21, v16
	v_mul_f16_sdwa v16, v22, v20 dst_sel:DWORD dst_unused:UNUSED_PAD src0_sel:WORD_1 src1_sel:DWORD
	v_fma_f16 v19, v22, v20, -v29
	v_lshrrev_b32_e32 v20, 16, v18
	s_waitcnt vmcnt(16)
	v_mul_f16_sdwa v21, v23, v18 dst_sel:DWORD dst_unused:UNUSED_PAD src0_sel:WORD_1 src1_sel:DWORD
	s_waitcnt vmcnt(14)
	v_lshrrev_b32_e32 v29, 16, v13
	ds_write2_b32 v64, v11, v12 offset0:13 offset1:38
	v_pack_b32_f16 v11, v14, v15
	v_mul_f16_sdwa v12, v23, v20 dst_sel:DWORD dst_unused:UNUSED_PAD src0_sel:WORD_1 src1_sel:DWORD
	v_lshrrev_b32_e32 v15, 16, v24
	v_fmac_f16_e32 v16, v22, v17
	s_waitcnt vmcnt(12)
	v_mul_f16_sdwa v17, v26, v24 dst_sel:DWORD dst_unused:UNUSED_PAD src0_sel:WORD_1 src1_sel:DWORD
	v_fma_f16 v14, v23, v20, -v21
	v_mul_f16_sdwa v20, v25, v29 dst_sel:DWORD dst_unused:UNUSED_PAD src0_sel:WORD_1 src1_sel:DWORD
	v_fmac_f16_e32 v12, v23, v18
	v_mul_f16_sdwa v18, v26, v15 dst_sel:DWORD dst_unused:UNUSED_PAD src0_sel:WORD_1 src1_sel:DWORD
	v_pack_b32_f16 v16, v16, v19
	v_fma_f16 v15, v26, v15, -v17
	s_waitcnt vmcnt(11)
	v_lshrrev_b32_e32 v17, 16, v27
	v_mul_f16_sdwa v30, v25, v13 dst_sel:DWORD dst_unused:UNUSED_PAD src0_sel:WORD_1 src1_sel:DWORD
	s_waitcnt vmcnt(10)
	v_mul_f16_sdwa v19, v28, v27 dst_sel:DWORD dst_unused:UNUSED_PAD src0_sel:WORD_1 src1_sel:DWORD
	v_fmac_f16_e32 v20, v25, v13
	v_fmac_f16_e32 v18, v26, v24
	s_waitcnt vmcnt(9)
	v_lshrrev_b32_e32 v13, 16, v7
	ds_write2_b32 v64, v11, v16 offset0:63 offset1:88
	v_pack_b32_f16 v11, v12, v14
	v_mul_f16_sdwa v12, v28, v17 dst_sel:DWORD dst_unused:UNUSED_PAD src0_sel:WORD_1 src1_sel:DWORD
	v_fma_f16 v14, v28, v17, -v19
	v_pack_b32_f16 v15, v18, v15
	s_waitcnt vmcnt(8)
	v_mul_f16_sdwa v17, v8, v13 dst_sel:DWORD dst_unused:UNUSED_PAD src0_sel:WORD_1 src1_sel:DWORD
	v_mul_f16_sdwa v16, v8, v7 dst_sel:DWORD dst_unused:UNUSED_PAD src0_sel:WORD_1 src1_sel:DWORD
	v_fmac_f16_e32 v12, v28, v27
	s_waitcnt vmcnt(7)
	v_lshrrev_b32_e32 v18, 16, v1
	s_waitcnt vmcnt(6)
	v_mul_f16_sdwa v19, v5, v1 dst_sel:DWORD dst_unused:UNUSED_PAD src0_sel:WORD_1 src1_sel:DWORD
	v_fmac_f16_e32 v17, v8, v7
	v_fma_f16 v13, v8, v13, -v16
	v_pack_b32_f16 v12, v12, v14
	v_mul_f16_sdwa v7, v5, v18 dst_sel:DWORD dst_unused:UNUSED_PAD src0_sel:WORD_1 src1_sel:DWORD
	s_waitcnt vmcnt(5)
	v_lshrrev_b32_e32 v14, 16, v2
	s_waitcnt vmcnt(4)
	v_mul_f16_sdwa v16, v0, v2 dst_sel:DWORD dst_unused:UNUSED_PAD src0_sel:WORD_1 src1_sel:DWORD
	v_fma_f16 v8, v5, v18, -v19
	v_pack_b32_f16 v13, v17, v13
	v_fmac_f16_e32 v7, v5, v1
	s_waitcnt vmcnt(3)
	v_lshrrev_b32_e32 v1, 16, v3
	v_mul_f16_sdwa v5, v0, v14 dst_sel:DWORD dst_unused:UNUSED_PAD src0_sel:WORD_1 src1_sel:DWORD
	s_waitcnt vmcnt(2)
	v_lshrrev_b32_e32 v17, 16, v6
	v_fma_f16 v14, v0, v14, -v16
	s_waitcnt vmcnt(1)
	v_mul_f16_sdwa v16, v9, v3 dst_sel:DWORD dst_unused:UNUSED_PAD src0_sel:WORD_1 src1_sel:DWORD
	v_mul_f16_sdwa v18, v9, v1 dst_sel:DWORD dst_unused:UNUSED_PAD src0_sel:WORD_1 src1_sel:DWORD
	v_fmac_f16_e32 v5, v0, v2
	s_waitcnt vmcnt(0)
	v_mul_f16_sdwa v0, v10, v17 dst_sel:DWORD dst_unused:UNUSED_PAD src0_sel:WORD_1 src1_sel:DWORD
	v_mul_f16_sdwa v2, v10, v6 dst_sel:DWORD dst_unused:UNUSED_PAD src0_sel:WORD_1 src1_sel:DWORD
	v_fma_f16 v21, v25, v29, -v30
	v_fma_f16 v1, v9, v1, -v16
	v_fmac_f16_e32 v18, v9, v3
	v_fmac_f16_e32 v0, v10, v6
	v_fma_f16 v2, v10, v17, -v2
	v_pack_b32_f16 v3, v7, v8
	v_pack_b32_f16 v5, v5, v14
	;; [unrolled: 1-line block ×4, first 2 shown]
	v_add_nc_u32_e32 v7, 0x400, v64
	v_pack_b32_f16 v0, v0, v2
	ds_write2_b32 v64, v11, v15 offset0:113 offset1:138
	ds_write2_b32 v64, v12, v13 offset0:163 offset1:188
	ds_write2_b32 v64, v3, v5 offset0:213 offset1:238
	ds_write2_b32 v7, v1, v6 offset0:7 offset1:32
	ds_write_b32 v64, v0 offset:1252
.LBB0_3:
	s_or_b32 exec_lo, exec_lo, s1
	s_waitcnt lgkmcnt(0)
	s_barrier
	buffer_gl0_inv
	ds_read2_b32 v[12:13], v64 offset1:25
	ds_read2_b32 v[22:23], v64 offset0:50 offset1:75
	ds_read2_b32 v[18:19], v64 offset0:100 offset1:125
	;; [unrolled: 1-line block ×5, first 2 shown]
	ds_read_b32 v29, v64 offset:1200
	s_load_dwordx2 s[0:1], s[4:5], 0x8
	v_mov_b32_e32 v4, 0
                                        ; implicit-def: $vgpr24
                                        ; implicit-def: $vgpr1
                                        ; implicit-def: $vgpr3
                                        ; implicit-def: $vgpr7
                                        ; implicit-def: $vgpr9
                                        ; implicit-def: $vgpr11
	s_and_saveexec_b32 s2, vcc_lo
	s_cbranch_execz .LBB0_5
; %bb.4:
	v_add_nc_u32_e32 v0, 0x400, v64
	ds_read2_b32 v[4:5], v64 offset0:13 offset1:38
	ds_read2_b32 v[10:11], v64 offset0:63 offset1:88
	;; [unrolled: 1-line block ×6, first 2 shown]
	ds_read_b32 v24, v64 offset:1252
.LBB0_5:
	s_or_b32 exec_lo, exec_lo, s2
	s_waitcnt lgkmcnt(0)
	v_pk_add_f16 v30, v12, v13
	v_pk_add_f16 v35, v29, v13
	v_mov_b32_e32 v28, 0xb770
	v_pk_add_f16 v40, v13, v29 neg_lo:[0,1] neg_hi:[0,1]
	v_pk_add_f16 v13, v15, v22
	v_pk_add_f16 v30, v30, v22
	v_pk_mul_f16 v32, 0x3b15388b, v35
	v_mov_b32_e32 v25, 0xba95
	v_pk_add_f16 v43, v22, v15 neg_lo:[0,1] neg_hi:[0,1]
	v_mul_f16_sdwa v58, v40, v28 dst_sel:DWORD dst_unused:UNUSED_PAD src0_sel:WORD_1 src1_sel:DWORD
	v_pk_add_f16 v30, v30, v23
	v_pk_mul_f16 v34, 0x388bb5ac, v13
	v_pk_fma_f16 v57, 0xba95b770, v40, v32 op_sel:[0,0,1] op_sel_hi:[1,1,0] neg_lo:[0,1,0] neg_hi:[0,1,0]
	v_pk_fma_f16 v61, 0xba95b770, v40, v32 op_sel:[0,0,1] op_sel_hi:[1,1,0]
	v_lshrrev_b32_e32 v59, 16, v35
	v_pk_add_f16 v30, v30, v18
	v_mul_f16_e32 v60, 0xba95, v40
	v_mul_f16_sdwa v31, v43, v25 dst_sel:DWORD dst_unused:UNUSED_PAD src0_sel:WORD_1 src1_sel:DWORD
	v_fma_f16 v41, v35, 0x3b15, -v58
	v_pk_fma_f16 v56, 0xbb7bba95, v43, v34 op_sel:[0,0,1] op_sel_hi:[1,1,0]
	v_pk_add_f16 v33, v30, v19
	v_bfi_b32 v48, 0xffff, v61, v57
	v_pk_add_f16 v22, v14, v23
	v_pk_add_f16 v47, v23, v14 neg_lo:[0,1] neg_hi:[0,1]
	v_lshrrev_b32_e32 v49, 16, v13
	v_pk_add_f16 v33, v33, v16
	v_mul_f16_e32 v54, 0xbb7b, v43
	v_fmamk_f16 v42, v59, 0x388b, v60
	v_fma_f16 v44, v13, 0x388b, -v31
	v_add_f16_e32 v41, v12, v41
	v_pk_add_f16 v32, v33, v17
	v_pk_fma_f16 v33, 0xbb7bba95, v43, v34 op_sel:[0,0,1] op_sel_hi:[1,1,0] neg_lo:[0,1,0] neg_hi:[0,1,0]
	v_pk_add_f16 v48, v12, v48 op_sel:[1,0] op_sel_hi:[0,1]
	v_mov_b32_e32 v27, 0xbbf1
	v_pk_add_f16 v23, v21, v18
	v_pk_add_f16 v34, v32, v20
	v_bfi_b32 v50, 0xffff, v56, v33
	v_pk_mul_f16 v39, 0x2fb7bbc4, v22
	v_fmamk_f16 v45, v49, 0xb5ac, v54
	v_add_f16_sdwa v42, v12, v42 dst_sel:DWORD dst_unused:UNUSED_PAD src0_sel:WORD_1 src1_sel:DWORD
	v_pk_add_f16 v34, v34, v21
	v_mul_f16_e32 v55, 0xb3a8, v47
	v_mov_b32_e32 v26, 0xbb7b
	v_mul_f16_sdwa v30, v47, v27 dst_sel:DWORD dst_unused:UNUSED_PAD src0_sel:WORD_1 src1_sel:DWORD
	v_pk_fma_f16 v32, 0xb3a8bbf1, v47, v39 op_sel:[0,0,1] op_sel_hi:[1,1,0] neg_lo:[0,1,0] neg_hi:[0,1,0]
	v_pk_add_f16 v62, v34, v14
	v_add_f16_e32 v14, v44, v41
	v_pk_add_f16 v41, v50, v48
	v_lshrrev_b32_e32 v50, 16, v22
	v_pk_fma_f16 v53, 0xb3a8bbf1, v47, v39 op_sel:[0,0,1] op_sel_hi:[1,1,0]
	v_add_f16_e32 v39, v45, v42
	v_pk_add_f16 v80, v18, v21 neg_lo:[0,1] neg_hi:[0,1]
	v_pk_mul_f16 v42, 0xb5acb9fd, v23
	v_fmamk_f16 v44, v50, 0xbbc4, v55
	v_fma_f16 v46, v22, 0x2fb7, -v30
	v_bfi_b32 v18, 0xffff, v53, v32
	v_mul_f16_sdwa v34, v80, v26 dst_sel:DWORD dst_unused:UNUSED_PAD src0_sel:WORD_1 src1_sel:DWORD
	v_pk_fma_f16 v21, 0x394ebb7b, v80, v42 op_sel:[0,0,1] op_sel_hi:[1,1,0] neg_lo:[0,1,0] neg_hi:[0,1,0]
	v_pk_fma_f16 v51, 0x394ebb7b, v80, v42 op_sel:[0,0,1] op_sel_hi:[1,1,0]
	v_add_f16_e32 v42, v44, v39
	v_pk_add_f16 v39, v20, v19
	v_add_f16_e32 v14, v46, v14
	v_pk_add_f16 v41, v18, v41
	v_fma_f16 v44, v23, 0xb5ac, -v34
	v_pk_add_f16 v81, v19, v20 neg_lo:[0,1] neg_hi:[0,1]
	v_bfi_b32 v19, 0xffff, v51, v21
	v_lshrrev_b32_e32 v83, 16, v23
	v_mul_f16_e32 v84, 0x394e, v80
	v_pk_mul_f16 v45, 0xb9fd2fb7, v39
	v_mov_b32_e32 v18, 0xb94e
	v_add_f16_e32 v46, v44, v14
	v_pk_add_f16 v41, v19, v41
	v_fmamk_f16 v14, v83, 0xb9fd, v84
	v_pk_fma_f16 v19, 0x3bf1b94e, v81, v45 op_sel:[0,0,1] op_sel_hi:[1,1,0] neg_lo:[0,1,0] neg_hi:[0,1,0]
	v_pk_add_f16 v44, v17, v16
	v_pk_fma_f16 v85, 0x3bf1b94e, v81, v45 op_sel:[0,0,1] op_sel_hi:[1,1,0]
	v_mul_f16_sdwa v20, v81, v18 dst_sel:DWORD dst_unused:UNUSED_PAD src0_sel:WORD_1 src1_sel:DWORD
	v_lshrrev_b32_e32 v86, 16, v39
	v_mul_f16_e32 v87, 0x3bf1, v81
	v_pk_add_f16 v17, v16, v17 neg_lo:[0,1] neg_hi:[0,1]
	v_pk_mul_f16 v88, 0xbbc43b15, v44
	v_add_f16_e32 v16, v14, v42
	v_bfi_b32 v48, 0xffff, v85, v19
	v_mov_b32_e32 v14, 0xb3a8
	v_fma_f16 v42, v39, 0xb9fd, -v20
	v_fmamk_f16 v82, v86, 0x2fb7, v87
	v_pk_fma_f16 v45, 0x3770b3a8, v17, v88 op_sel:[0,0,1] op_sel_hi:[1,1,0] neg_lo:[0,1,0] neg_hi:[0,1,0]
	v_pk_fma_f16 v89, 0x3770b3a8, v17, v88 op_sel:[0,0,1] op_sel_hi:[1,1,0]
	v_lshrrev_b32_e32 v90, 16, v44
	v_mul_f16_e32 v91, 0x3770, v17
	v_pk_add_f16 v41, v48, v41
	v_mul_f16_sdwa v48, v17, v14 dst_sel:DWORD dst_unused:UNUSED_PAD src0_sel:WORD_1 src1_sel:DWORD
	v_bfi_b32 v89, 0xffff, v89, v45
	v_add_f16_e32 v16, v82, v16
	v_fmamk_f16 v82, v90, 0x3b15, v91
	v_add_f16_e32 v42, v42, v46
	v_fma_f16 v46, v44, 0xbbc4, -v48
	v_pk_add_f16 v41, v89, v41
	v_mul_lo_u16 v89, v75, 13
	v_add_f16_e32 v16, v82, v16
	v_pk_add_f16 v62, v62, v15
	v_add_f16_e32 v15, v46, v42
	v_mul_f16_sdwa v92, v40, v27 dst_sel:DWORD dst_unused:UNUSED_PAD src0_sel:WORD_1 src1_sel:DWORD
	v_mul_f16_e32 v93, 0xbbf1, v40
	v_and_b32_e32 v42, 0xffff, v89
	v_alignbit_b32 v89, v16, v41, 16
	v_pack_b32_f16 v94, v15, v41
	v_fma_f16 v15, v35, 0x2fb7, -v92
	v_mul_f16_sdwa v95, v43, v14 dst_sel:DWORD dst_unused:UNUSED_PAD src0_sel:WORD_1 src1_sel:DWORD
	v_fmamk_f16 v16, v59, 0x2fb7, v93
	v_mul_f16_e32 v96, 0xb3a8, v43
	v_lshl_add_u32 v82, v42, 2, v79
	v_add_f16_e32 v41, v12, v15
	v_fma_f16 v42, v13, 0xbbc4, -v95
	v_add_f16_sdwa v16, v12, v16 dst_sel:DWORD dst_unused:UNUSED_PAD src0_sel:WORD_1 src1_sel:DWORD
	v_mul_f16_sdwa v97, v40, v26 dst_sel:DWORD dst_unused:UNUSED_PAD src0_sel:WORD_1 src1_sel:DWORD
	v_mov_b32_e32 v15, 0x394e
	v_fmamk_f16 v46, v49, 0xbbc4, v96
	v_mul_f16_e32 v98, 0xbb7b, v40
	v_add_f16_e32 v41, v42, v41
	v_fma_f16 v42, v35, 0xb5ac, -v97
	v_mul_f16_sdwa v99, v43, v15 dst_sel:DWORD dst_unused:UNUSED_PAD src0_sel:WORD_1 src1_sel:DWORD
	v_add_f16_e32 v46, v46, v16
	v_mov_b32_e32 v16, 0x3b7b
	v_fmamk_f16 v100, v59, 0xb5ac, v98
	v_mul_f16_e32 v102, 0x394e, v43
	v_add_f16_e32 v42, v12, v42
	v_fma_f16 v101, v13, 0xb9fd, -v99
	v_mul_f16_sdwa v103, v47, v16 dst_sel:DWORD dst_unused:UNUSED_PAD src0_sel:WORD_1 src1_sel:DWORD
	v_add_f16_sdwa v100, v12, v100 dst_sel:DWORD dst_unused:UNUSED_PAD src0_sel:WORD_1 src1_sel:DWORD
	v_mul_f16_e32 v104, 0x3b7b, v47
	v_mov_b32_e32 v16, 0x3770
	v_fmamk_f16 v105, v49, 0xb9fd, v102
	v_add_f16_e32 v42, v101, v42
	v_fma_f16 v106, v22, 0xb5ac, -v103
	v_fmamk_f16 v101, v50, 0xb5ac, v104
	v_mul_f16_sdwa v107, v47, v16 dst_sel:DWORD dst_unused:UNUSED_PAD src0_sel:WORD_1 src1_sel:DWORD
	v_add_f16_e32 v100, v105, v100
	v_mul_f16_e32 v105, 0x3770, v47
	v_mul_f16_e32 v108, 0x3770, v80
	v_add_f16_e32 v46, v101, v46
	v_fma_f16 v101, v22, 0x3b15, -v107
	v_mul_f16_sdwa v110, v80, v27 dst_sel:DWORD dst_unused:UNUSED_PAD src0_sel:WORD_1 src1_sel:DWORD
	v_fmamk_f16 v109, v50, 0x3b15, v105
	v_add_f16_e32 v41, v106, v41
	v_mul_f16_sdwa v106, v80, v16 dst_sel:DWORD dst_unused:UNUSED_PAD src0_sel:WORD_1 src1_sel:DWORD
	v_add_f16_e32 v101, v101, v42
	v_fmamk_f16 v111, v83, 0x3b15, v108
	v_add_f16_e32 v100, v109, v100
	v_fma_f16 v109, v23, 0x2fb7, -v110
	v_mul_f16_e32 v112, 0xbbf1, v80
	v_fma_f16 v42, v23, 0x3b15, -v106
	v_add_f16_e32 v46, v111, v46
	v_mul_f16_sdwa v111, v81, v25 dst_sel:DWORD dst_unused:UNUSED_PAD src0_sel:WORD_1 src1_sel:DWORD
	v_add_f16_e32 v101, v109, v101
	v_fmamk_f16 v109, v83, 0x2fb7, v112
	v_mul_f16_e32 v115, 0x33a8, v81
	v_add_f16_e32 v41, v42, v41
	v_mul_f16_e32 v120, 0xb94e, v40
	v_mov_b32_e32 v42, 0x33a8
	v_add_f16_e32 v100, v109, v100
	v_fma_f16 v109, v39, 0x388b, -v111
	v_fmamk_f16 v118, v86, 0xbbc4, v115
	v_fmamk_f16 v123, v59, 0xb9fd, v120
	v_mul_f16_e32 v124, 0x3bf1, v43
	v_mul_f16_e32 v113, 0xba95, v81
	v_add_f16_e32 v109, v109, v41
	v_add_f16_e32 v100, v118, v100
	v_mul_f16_sdwa v118, v40, v18 dst_sel:DWORD dst_unused:UNUSED_PAD src0_sel:WORD_1 src1_sel:DWORD
	v_mov_b32_e32 v41, 0x3bf1
	v_mul_f16_sdwa v114, v81, v42 dst_sel:DWORD dst_unused:UNUSED_PAD src0_sel:WORD_1 src1_sel:DWORD
	v_add_f16_sdwa v123, v12, v123 dst_sel:DWORD dst_unused:UNUSED_PAD src0_sel:WORD_1 src1_sel:DWORD
	v_fmamk_f16 v127, v49, 0x2fb7, v124
	v_fma_f16 v121, v35, 0xb9fd, -v118
	v_mul_f16_sdwa v122, v43, v41 dst_sel:DWORD dst_unused:UNUSED_PAD src0_sel:WORD_1 src1_sel:DWORD
	v_mul_f16_sdwa v128, v47, v25 dst_sel:DWORD dst_unused:UNUSED_PAD src0_sel:WORD_1 src1_sel:DWORD
	v_mul_f16_e32 v129, 0xba95, v47
	v_fmamk_f16 v116, v86, 0x388b, v113
	v_add_f16_e32 v121, v12, v121
	v_fma_f16 v126, v13, 0x2fb7, -v122
	v_fma_f16 v117, v39, 0xbbc4, -v114
	v_mul_f16_sdwa v119, v17, v18 dst_sel:DWORD dst_unused:UNUSED_PAD src0_sel:WORD_1 src1_sel:DWORD
	v_add_f16_e32 v123, v127, v123
	v_fmamk_f16 v127, v50, 0x388b, v129
	v_add_f16_e32 v121, v126, v121
	v_fma_f16 v126, v22, 0x388b, -v128
	v_mul_f16_sdwa v131, v80, v42 dst_sel:DWORD dst_unused:UNUSED_PAD src0_sel:WORD_1 src1_sel:DWORD
	v_mul_f16_e32 v132, 0x33a8, v80
	v_add_f16_e32 v116, v116, v46
	v_add_f16_e32 v101, v117, v101
	v_fma_f16 v117, v44, 0xb9fd, -v119
	v_mov_b32_e32 v46, 0x3a95
	v_add_f16_e32 v121, v126, v121
	v_add_f16_e32 v123, v127, v123
	v_fma_f16 v126, v23, 0xbbc4, -v131
	v_fmamk_f16 v127, v83, 0xbbc4, v132
	v_mul_f16_sdwa v134, v81, v16 dst_sel:DWORD dst_unused:UNUSED_PAD src0_sel:WORD_1 src1_sel:DWORD
	v_mul_f16_e32 v135, 0x3770, v81
	v_add_f16_e32 v109, v117, v109
	v_mul_f16_sdwa v117, v17, v46 dst_sel:DWORD dst_unused:UNUSED_PAD src0_sel:WORD_1 src1_sel:DWORD
	v_mul_f16_e32 v130, 0x3a95, v17
	v_mul_f16_e32 v136, 0xb9fd, v90
	v_add_f16_e32 v121, v126, v121
	v_add_f16_e32 v123, v127, v123
	v_fma_f16 v126, v39, 0x3b15, -v134
	v_fmamk_f16 v127, v86, 0x3b15, v135
	v_mul_f16_sdwa v137, v17, v26 dst_sel:DWORD dst_unused:UNUSED_PAD src0_sel:WORD_1 src1_sel:DWORD
	v_mul_f16_e32 v138, 0xbb7b, v17
	v_fma_f16 v125, v44, 0x388b, -v117
	v_fmamk_f16 v133, v90, 0x388b, v130
	v_fmamk_f16 v139, v17, 0xb94e, v136
	v_add_f16_e32 v121, v126, v121
	v_add_f16_e32 v123, v127, v123
	v_fma_f16 v126, v44, 0xb5ac, -v137
	v_fmamk_f16 v127, v90, 0xb5ac, v138
	v_add_f16_e32 v101, v125, v101
	v_add_f16_e32 v100, v133, v100
	;; [unrolled: 1-line block ×5, first 2 shown]
	s_barrier
	v_pack_b32_f16 v100, v101, v100
	v_pack_b32_f16 v101, v109, v116
	buffer_gl0_inv
	ds_write2_b32 v82, v94, v89 offset0:1 offset1:2
	v_pk_mul_f16 v89, 0xbbc4, v35 op_sel_hi:[0,1]
	v_pk_add_f16 v29, v62, v29
	v_pack_b32_f16 v62, v121, v123
	ds_write2_b32 v82, v101, v100 offset0:3 offset1:4
	ds_write2_b32 v82, v29, v62 offset1:5
	v_pk_fma_f16 v62, 0xb3a8, v40, v89 op_sel:[0,0,1] op_sel_hi:[0,1,0] neg_lo:[0,1,0] neg_hi:[0,1,0]
	v_pk_fma_f16 v40, 0xb3a8, v40, v89 op_sel:[0,0,1] op_sel_hi:[0,1,0]
	v_pk_mul_f16 v89, 0x3b15, v13 op_sel_hi:[0,1]
	v_fmac_f16_e32 v58, 0x3b15, v35
	v_fmac_f16_e32 v92, 0x2fb7, v35
	v_pk_add_f16 v62, v12, v62 op_sel:[1,0] op_sel_hi:[0,1]
	v_pk_add_f16 v40, v12, v40 op_sel:[1,0] op_sel_hi:[0,1]
	v_pk_fma_f16 v94, 0x3770, v43, v89 op_sel:[0,0,1] op_sel_hi:[0,1,0] neg_lo:[0,1,0] neg_hi:[0,1,0]
	v_pk_fma_f16 v43, 0x3770, v43, v89 op_sel:[0,0,1] op_sel_hi:[0,1,0]
	v_pk_mul_f16 v89, 0xb9fd, v22 op_sel_hi:[0,1]
	v_fmac_f16_e32 v97, 0xb5ac, v35
	v_fmac_f16_e32 v118, 0xb9fd, v35
	v_pk_add_f16 v62, v94, v62
	v_pk_add_f16 v40, v43, v40
	v_pk_fma_f16 v43, 0xb94e, v47, v89 op_sel:[0,0,1] op_sel_hi:[0,1,0] neg_lo:[0,1,0] neg_hi:[0,1,0]
	v_pk_fma_f16 v47, 0xb94e, v47, v89 op_sel:[0,0,1] op_sel_hi:[0,1,0]
	v_pk_mul_f16 v89, 0x388b, v23 op_sel_hi:[0,1]
	v_fma_f16 v29, v59, 0x388b, -v60
	v_fma_f16 v60, v59, 0x2fb7, -v93
	v_pk_add_f16 v35, v43, v62
	v_pk_add_f16 v40, v47, v40
	v_pk_fma_f16 v43, 0x3a95, v80, v89 op_sel:[0,0,1] op_sel_hi:[0,1,0] neg_lo:[0,1,0] neg_hi:[0,1,0]
	v_pk_fma_f16 v47, 0x3a95, v80, v89 op_sel:[0,0,1] op_sel_hi:[0,1,0]
	v_pk_mul_f16 v62, 0xb5ac, v39 op_sel_hi:[0,1]
	v_fma_f16 v93, v59, 0xb5ac, -v98
	v_fma_f16 v59, v59, 0xb9fd, -v120
	v_pk_add_f16 v35, v43, v35
	v_pk_add_f16 v40, v47, v40
	v_pk_fma_f16 v43, 0xbb7b, v81, v62 op_sel:[0,0,1] op_sel_hi:[0,1,0] neg_lo:[0,1,0] neg_hi:[0,1,0]
	v_pk_fma_f16 v47, 0xbb7b, v81, v62 op_sel:[0,0,1] op_sel_hi:[0,1,0]
	v_pk_mul_f16 v62, 0x2fb7, v44 op_sel_hi:[0,1]
	v_add_f16_e32 v58, v12, v58
	v_pk_add_f16 v61, v12, v61 op_sel:[1,0] op_sel_hi:[0,1]
	v_pk_add_f16 v35, v43, v35
	v_pk_add_f16 v40, v47, v40
	v_pk_fma_f16 v43, 0x3bf1, v17, v62 op_sel:[0,0,1] op_sel_hi:[0,1,0] neg_lo:[0,1,0] neg_hi:[0,1,0]
	v_pk_fma_f16 v47, 0x3bf1, v17, v62 op_sel:[0,0,1] op_sel_hi:[0,1,0]
	v_add_f16_sdwa v29, v12, v29 dst_sel:DWORD dst_unused:UNUSED_PAD src0_sel:WORD_1 src1_sel:DWORD
	v_add_f16_e32 v80, v12, v92
	v_add_f16_sdwa v60, v12, v60 dst_sel:DWORD dst_unused:UNUSED_PAD src0_sel:WORD_1 src1_sel:DWORD
	v_add_f16_e32 v62, v12, v97
	v_add_f16_sdwa v81, v12, v93 dst_sel:DWORD dst_unused:UNUSED_PAD src0_sel:WORD_1 src1_sel:DWORD
	v_pk_add_f16 v35, v43, v35
	v_pk_add_f16 v40, v47, v40
	v_add_f16_e32 v43, v12, v118
	v_add_f16_sdwa v47, v12, v59 dst_sel:DWORD dst_unused:UNUSED_PAD src0_sel:WORD_1 src1_sel:DWORD
	v_add_f16_sdwa v89, v12, v57 dst_sel:DWORD dst_unused:UNUSED_PAD src0_sel:WORD_1 src1_sel:DWORD
	v_fma_f16 v12, v49, 0xb5ac, -v54
	v_fmac_f16_e32 v95, 0xbbc4, v13
	v_fma_f16 v54, v49, 0xb9fd, -v102
	v_alignbit_b32 v92, v35, v40, 16
	v_alignbit_b32 v93, v40, v35, 16
	v_add_f16_e32 v12, v12, v29
	v_fma_f16 v29, v49, 0xbbc4, -v96
	v_fma_f16 v49, v49, 0x2fb7, -v124
	v_pk_add_f16 v35, v56, v61
	v_fmac_f16_e32 v99, 0xb9fd, v13
	v_add_f16_e32 v40, v95, v80
	v_add_f16_e32 v29, v29, v60
	v_fmac_f16_e32 v103, 0xb5ac, v22
	v_add_f16_e32 v47, v49, v47
	v_fma_f16 v49, v50, 0xb5ac, -v104
	v_add_f16_e32 v56, v99, v62
	v_add_f16_e32 v54, v54, v81
	v_pk_add_f16 v35, v53, v35
	v_add_f16_e32 v40, v103, v40
	v_fmac_f16_e32 v107, 0x3b15, v22
	v_fma_f16 v53, v50, 0x3b15, -v105
	v_add_f16_e32 v29, v49, v29
	v_fma_f16 v49, v50, 0x388b, -v129
	v_fmac_f16_e32 v106, 0x3b15, v23
	v_fma_f16 v55, v50, 0xbbc4, -v55
	v_add_f16_e32 v50, v107, v56
	v_add_f16_e32 v53, v53, v54
	;; [unrolled: 1-line block ×3, first 2 shown]
	v_pk_add_f16 v35, v51, v35
	v_fma_f16 v49, v83, 0x3b15, -v108
	v_fmac_f16_e32 v110, 0x2fb7, v23
	v_fma_f16 v51, v83, 0x2fb7, -v112
	v_add_f16_e32 v40, v106, v40
	v_fmac_f16_e32 v111, 0x388b, v39
	v_fmac_f16_e32 v122, 0x2fb7, v13
	v_add_f16_e32 v12, v55, v12
	v_fma_f16 v54, v83, 0xb9fd, -v84
	v_add_f16_e32 v49, v49, v29
	v_add_f16_e32 v29, v110, v50
	;; [unrolled: 1-line block ×3, first 2 shown]
	v_fma_f16 v51, v83, 0xbbc4, -v132
	v_add_f16_e32 v40, v111, v40
	v_fmac_f16_e32 v119, 0xb9fd, v44
	v_add_f16_e32 v43, v122, v43
	v_fmac_f16_e32 v128, 0x388b, v22
	v_add_f16_e32 v12, v54, v12
	v_fma_f16 v53, v86, 0x2fb7, -v87
	v_fmac_f16_e32 v114, 0xbbc4, v39
	v_add_f16_e32 v47, v51, v47
	v_fma_f16 v51, v86, 0xbbc4, -v115
	v_add_f16_e32 v81, v119, v40
	v_mul_f16_e32 v40, 0xb94e, v17
	v_add_f16_e32 v43, v128, v43
	v_fmac_f16_e32 v131, 0xbbc4, v23
	v_add_f16_e32 v12, v53, v12
	v_add_f16_e32 v29, v114, v29
	;; [unrolled: 1-line block ×3, first 2 shown]
	v_fma_f16 v51, v86, 0x388b, -v113
	v_fma_f16 v53, v86, 0x3b15, -v135
	;; [unrolled: 1-line block ×3, first 2 shown]
	v_fmac_f16_e32 v117, 0x388b, v44
	v_pk_mul_f16 v17, 0x3770b3a8, v17
	v_bfi_b32 v40, 0xffff, v40, v35
	v_add_f16_e32 v43, v131, v43
	v_fmac_f16_e32 v134, 0x3b15, v39
	v_add_f16_e32 v47, v53, v47
	v_add_f16_e32 v80, v54, v12
	v_fma_f16 v53, v90, 0x388b, -v130
	v_add_f16_e32 v55, v117, v29
	v_pk_add_f16 v12, v5, v24 neg_lo:[0,1] neg_hi:[0,1]
	v_pk_add_f16 v29, v24, v5
	v_pack_b32_f16 v51, v51, v88
	v_bfi_b32 v17, 0xffff, v49, v17
	v_pk_add_f16 v40, v136, v40 neg_lo:[0,1] neg_hi:[0,1]
	v_pk_add_f16 v35, v85, v35
	v_add_f16_e32 v43, v134, v43
	v_add_f16_e32 v50, v53, v50
	v_mul_f16_sdwa v54, v12, v28 dst_sel:DWORD dst_unused:UNUSED_PAD src0_sel:WORD_1 src1_sel:DWORD
	v_fma_f16 v28, v90, 0xb5ac, -v138
	v_lshrrev_b32_e32 v49, 16, v29
	v_fmac_f16_e32 v137, 0xb5ac, v44
	v_pk_add_f16 v51, v51, v17
	v_mul_f16_e32 v59, 0xb770, v12
	v_bfi_b32 v35, 0xffff, v40, v35
	v_pk_add_f16 v17, v10, v1 neg_lo:[0,1] neg_hi:[0,1]
	v_pk_add_f16 v40, v1, v10
	v_fmamk_f16 v53, v29, 0x3b15, v54
	v_add_f16_e32 v57, v137, v43
	v_add_f16_e32 v47, v28, v47
	v_fma_f16 v61, v49, 0x3b15, -v59
	v_mul_f16_sdwa v56, v17, v25 dst_sel:DWORD dst_unused:UNUSED_PAD src0_sel:WORD_1 src1_sel:DWORD
	v_pack_b32_f16 v85, v55, v50
	v_pk_add_f16 v28, v11, v0 neg_lo:[0,1] neg_hi:[0,1]
	v_lshrrev_b32_e32 v50, 16, v40
	v_mul_f16_e32 v60, 0xba95, v17
	v_pk_add_f16 v43, v0, v11
	v_add_f16_e32 v53, v53, v4
	v_pk_add_f16 v83, v35, v51
	v_fmamk_f16 v35, v40, 0x388b, v56
	v_mul_f16_sdwa v55, v28, v27 dst_sel:DWORD dst_unused:UNUSED_PAD src0_sel:WORD_1 src1_sel:DWORD
	v_add_f16_sdwa v62, v61, v4 dst_sel:DWORD dst_unused:UNUSED_PAD src0_sel:DWORD src1_sel:WORD_1
	v_fma_f16 v84, v50, 0x388b, -v60
	v_lshrrev_b32_e32 v51, 16, v43
	v_mul_f16_e32 v61, 0xbbf1, v28
	v_add_f16_e32 v53, v35, v53
	v_fmamk_f16 v86, v43, 0x2fb7, v55
	v_add_f16_e32 v62, v84, v62
	v_pk_add_f16 v35, v8, v3 neg_lo:[0,1] neg_hi:[0,1]
	v_fma_f16 v84, v51, 0x2fb7, -v61
	v_pack_b32_f16 v87, v57, v47
	v_pk_add_f16 v47, v3, v8
	v_add_f16_e32 v86, v86, v53
	v_fmac_f16_e32 v31, 0x388b, v13
	v_add_f16_e32 v84, v84, v62
	v_mul_f16_e32 v62, 0xbb7b, v35
	v_lshrrev_b32_e32 v53, 16, v47
	v_fmac_f16_e32 v30, 0x2fb7, v22
	v_add_f16_e32 v90, v31, v58
	v_add_f16_e32 v89, v33, v89
	v_mul_f16_sdwa v57, v35, v26 dst_sel:DWORD dst_unused:UNUSED_PAD src0_sel:WORD_1 src1_sel:DWORD
	v_fma_f16 v22, v53, 0xb5ac, -v62
	v_pk_add_f16 v13, v9, v2 neg_lo:[0,1] neg_hi:[0,1]
	v_pk_add_f16 v31, v2, v9
	v_fmac_f16_e32 v34, 0xb5ac, v23
	v_add_f16_e32 v32, v32, v89
	v_add_f16_e32 v22, v22, v84
	;; [unrolled: 1-line block ×3, first 2 shown]
	v_fmamk_f16 v88, v47, 0xb5ac, v57
	v_mul_f16_sdwa v58, v13, v18 dst_sel:DWORD dst_unused:UNUSED_PAD src0_sel:WORD_1 src1_sel:DWORD
	v_lshrrev_b32_e32 v30, 16, v31
	v_mul_f16_e32 v33, 0xb94e, v13
	v_add_f16_e32 v34, v34, v84
	v_fmac_f16_e32 v20, 0xb9fd, v39
	v_pk_add_f16 v23, v6, v7 neg_lo:[0,1] neg_hi:[0,1]
	v_add_f16_e32 v32, v21, v32
	v_pk_add_f16 v21, v7, v6
	v_add_f16_e32 v86, v88, v86
	v_fmamk_f16 v88, v31, 0xb9fd, v58
	v_fma_f16 v39, v30, 0xb9fd, -v33
	v_add_f16_e32 v34, v20, v34
	v_fmac_f16_e32 v48, 0xbbc4, v44
	v_mul_f16_sdwa v20, v23, v14 dst_sel:DWORD dst_unused:UNUSED_PAD src0_sel:WORD_1 src1_sel:DWORD
	v_add_f16_e32 v44, v19, v32
	v_lshrrev_b32_e32 v19, 16, v21
	v_mul_f16_e32 v32, 0xb3a8, v23
	v_add_f16_e32 v86, v88, v86
	v_add_f16_e32 v39, v39, v22
	v_fmamk_f16 v84, v21, 0xbbc4, v20
	v_add_f16_e32 v44, v45, v44
	v_fma_f16 v45, v19, 0xbbc4, -v32
	v_add_co_u32 v22, null, v75, 13
	v_add_f16_e32 v34, v48, v34
	v_alignbit_b32 v80, v80, v83, 16
	v_pack_b32_f16 v48, v81, v83
	v_add_f16_e32 v84, v84, v86
	v_add_f16_e32 v83, v45, v39
	v_mul_u32_u24_e32 v81, 13, v22
	v_pack_b32_f16 v34, v34, v44
	ds_write2_b32 v82, v93, v92 offset0:6 offset1:7
	ds_write2_b32 v82, v87, v85 offset0:8 offset1:9
	;; [unrolled: 1-line block ×3, first 2 shown]
	ds_write_b32 v82, v34 offset:48
	s_and_saveexec_b32 s2, vcc_lo
	s_cbranch_execz .LBB0_7
; %bb.6:
	v_mul_f16_e32 v34, 0xb94e, v12
	v_mul_f16_e32 v48, 0x3bf1, v17
	;; [unrolled: 1-line block ×5, first 2 shown]
	v_fmamk_f16 v80, v49, 0xb9fd, v34
	v_fmamk_f16 v88, v50, 0x2fb7, v48
	v_mul_f16_e32 v91, 0x33a8, v35
	v_fmamk_f16 v92, v51, 0x388b, v87
	v_add_f16_e32 v45, v59, v45
	v_add_f16_sdwa v80, v80, v4 dst_sel:DWORD dst_unused:UNUSED_PAD src0_sel:DWORD src1_sel:WORD_1
	v_mul_f16_e32 v90, 0x2fb7, v51
	v_mul_f16_e32 v94, 0x3770, v13
	v_fmamk_f16 v95, v53, 0xbbc4, v91
	v_mul_f16_sdwa v18, v12, v18 dst_sel:DWORD dst_unused:UNUSED_PAD src0_sel:WORD_1 src1_sel:DWORD
	v_add_f16_e32 v80, v88, v80
	v_add_f16_sdwa v45, v45, v4 dst_sel:DWORD dst_unused:UNUSED_PAD src0_sel:DWORD src1_sel:WORD_1
	v_add_f16_e32 v60, v60, v86
	v_mul_f16_e32 v44, 0x3b15, v29
	v_mul_f16_e32 v93, 0xb5ac, v53
	v_add_f16_e32 v80, v92, v80
	v_fmamk_f16 v97, v30, 0x3b15, v94
	v_mul_f16_sdwa v98, v17, v41 dst_sel:DWORD dst_unused:UNUSED_PAD src0_sel:WORD_1 src1_sel:DWORD
	v_add_f16_e32 v45, v60, v45
	v_add_f16_e32 v60, v61, v90
	;; [unrolled: 1-line block ×3, first 2 shown]
	v_fma_f16 v95, v29, 0xb9fd, -v18
	v_mul_f16_e32 v85, 0x388b, v40
	v_mul_f16_e32 v96, 0xb9fd, v30
	v_mul_f16_sdwa v101, v28, v25 dst_sel:DWORD dst_unused:UNUSED_PAD src0_sel:WORD_1 src1_sel:DWORD
	v_add_f16_e32 v80, v97, v80
	v_add_f16_e32 v95, v95, v4
	v_fma_f16 v97, v40, 0x2fb7, -v98
	v_add_f16_e32 v45, v60, v45
	v_add_f16_e32 v60, v62, v93
	v_sub_f16_e32 v44, v44, v54
	v_mul_f16_e32 v89, 0x2fb7, v43
	v_add_f16_e32 v95, v97, v95
	v_fma_f16 v97, v43, 0x388b, -v101
	v_mul_f16_sdwa v105, v35, v42 dst_sel:DWORD dst_unused:UNUSED_PAD src0_sel:WORD_1 src1_sel:DWORD
	v_mul_f16_e32 v113, 0xbbc4, v19
	v_add_f16_e32 v45, v60, v45
	v_add_f16_e32 v33, v33, v96
	;; [unrolled: 1-line block ×3, first 2 shown]
	v_sub_f16_e32 v56, v85, v56
	v_mul_f16_e32 v88, 0xb5ac, v47
	v_add_f16_e32 v95, v97, v95
	v_fma_f16 v97, v47, 0xbbc4, -v105
	v_mul_f16_sdwa v108, v13, v16 dst_sel:DWORD dst_unused:UNUSED_PAD src0_sel:WORD_1 src1_sel:DWORD
	v_fma_f16 v34, v49, 0xb9fd, -v34
	v_add_f16_e32 v33, v33, v45
	v_add_f16_e32 v32, v32, v113
	;; [unrolled: 1-line block ×3, first 2 shown]
	v_sub_f16_e32 v45, v89, v55
	v_mul_f16_e32 v92, 0xb9fd, v31
	v_add_f16_e32 v95, v97, v95
	v_fma_f16 v97, v31, 0x3b15, -v108
	v_mul_f16_sdwa v110, v23, v26 dst_sel:DWORD dst_unused:UNUSED_PAD src0_sel:WORD_1 src1_sel:DWORD
	v_add_f16_sdwa v34, v34, v4 dst_sel:DWORD dst_unused:UNUSED_PAD src0_sel:DWORD src1_sel:WORD_1
	v_fma_f16 v48, v50, 0x2fb7, -v48
	v_add_f16_e32 v32, v32, v33
	v_add_f16_e32 v33, v45, v44
	v_sub_f16_e32 v44, v88, v57
	v_mul_f16_e32 v99, 0xbbc4, v21
	v_mul_f16_e32 v102, 0xbb7b, v23
	v_add_f16_e32 v95, v97, v95
	v_fma_f16 v97, v21, 0xb5ac, -v110
	v_add_f16_e32 v34, v48, v34
	v_fma_f16 v45, v51, 0x388b, -v87
	v_add_f16_e32 v33, v44, v33
	v_sub_f16_e32 v44, v92, v58
	v_mul_f16_e32 v100, 0xbb7b, v12
	v_fmamk_f16 v112, v19, 0xb5ac, v102
	v_add_f16_e32 v95, v97, v95
	v_mul_f16_sdwa v97, v12, v26 dst_sel:DWORD dst_unused:UNUSED_PAD src0_sel:WORD_1 src1_sel:DWORD
	v_add_f16_e32 v34, v45, v34
	v_fma_f16 v45, v53, 0xbbc4, -v91
	v_add_f16_e32 v33, v44, v33
	v_sub_f16_e32 v20, v99, v20
	v_alignbit_b32 v39, v4, v4, 16
	v_mul_f16_e32 v104, 0x394e, v17
	v_add_f16_e32 v80, v112, v80
	v_mul_f16_e32 v112, 0xbbf1, v12
	v_fma_f16 v115, v29, 0xb5ac, -v97
	v_mul_f16_sdwa v116, v17, v15 dst_sel:DWORD dst_unused:UNUSED_PAD src0_sel:WORD_1 src1_sel:DWORD
	v_add_f16_e32 v34, v45, v34
	v_fma_f16 v44, v30, 0x3b15, -v94
	v_add_f16_e32 v20, v20, v33
	v_fma_f16 v33, v49, 0xb5ac, -v100
	v_fmamk_f16 v103, v49, 0xb5ac, v100
	v_mul_f16_e32 v107, 0x3770, v28
	v_fmamk_f16 v118, v49, 0x2fb7, v112
	v_mul_f16_e32 v119, 0xb3a8, v17
	v_add_f16_e32 v115, v115, v4
	v_fma_f16 v120, v40, 0xb9fd, -v116
	v_mul_f16_sdwa v121, v28, v16 dst_sel:DWORD dst_unused:UNUSED_PAD src0_sel:WORD_1 src1_sel:DWORD
	v_add_f16_e32 v34, v44, v34
	v_fma_f16 v44, v19, 0xb5ac, -v102
	v_add_f16_sdwa v33, v33, v4 dst_sel:DWORD dst_unused:UNUSED_PAD src0_sel:DWORD src1_sel:WORD_1
	v_fma_f16 v45, v50, 0xb9fd, -v104
	v_pk_add_f16 v5, v5, v39 op_sel:[0,1] op_sel_hi:[1,0]
	v_add_f16_sdwa v103, v103, v4 dst_sel:DWORD dst_unused:UNUSED_PAD src0_sel:DWORD src1_sel:WORD_1
	v_fmamk_f16 v106, v50, 0xb9fd, v104
	v_mul_f16_e32 v109, 0xbbf1, v35
	v_add_f16_sdwa v118, v118, v4 dst_sel:DWORD dst_unused:UNUSED_PAD src0_sel:DWORD src1_sel:WORD_1
	v_fmamk_f16 v122, v50, 0xbbc4, v119
	v_mul_f16_e32 v123, 0x3b7b, v28
	v_add_f16_e32 v115, v120, v115
	v_fma_f16 v120, v43, 0x3b15, -v121
	v_mul_f16_sdwa v27, v35, v27 dst_sel:DWORD dst_unused:UNUSED_PAD src0_sel:WORD_1 src1_sel:DWORD
	v_add_f16_e32 v34, v44, v34
	v_add_f16_e32 v33, v45, v33
	v_fma_f16 v44, v51, 0x3b15, -v107
	v_fma_f16 v45, v49, 0x2fb7, -v112
	v_pk_add_f16 v5, v10, v5
	v_add_f16_e32 v103, v106, v103
	v_fmamk_f16 v106, v51, 0x3b15, v107
	v_add_f16_e32 v118, v122, v118
	v_fmamk_f16 v122, v51, 0xb5ac, v123
	v_mul_f16_e32 v124, 0x3770, v35
	v_add_f16_e32 v115, v120, v115
	v_fma_f16 v120, v47, 0x2fb7, -v27
	v_mul_f16_sdwa v42, v13, v42 dst_sel:DWORD dst_unused:UNUSED_PAD src0_sel:WORD_1 src1_sel:DWORD
	v_add_f16_e32 v33, v44, v33
	v_fma_f16 v44, v53, 0x2fb7, -v109
	v_add_f16_sdwa v45, v45, v4 dst_sel:DWORD dst_unused:UNUSED_PAD src0_sel:DWORD src1_sel:WORD_1
	v_fma_f16 v49, v50, 0xbbc4, -v119
	v_pk_add_f16 v5, v11, v5
	v_add_f16_e32 v103, v106, v103
	v_fmamk_f16 v106, v53, 0x2fb7, v109
	v_mul_f16_e32 v111, 0x33a8, v13
	v_add_f16_e32 v118, v122, v118
	v_fmamk_f16 v122, v53, 0x3b15, v124
	v_mul_f16_e32 v125, 0xba95, v13
	v_add_f16_e32 v115, v120, v115
	v_fma_f16 v120, v31, 0xbbc4, -v42
	v_mul_f16_sdwa v46, v23, v46 dst_sel:DWORD dst_unused:UNUSED_PAD src0_sel:WORD_1 src1_sel:DWORD
	v_fmac_f16_e32 v97, 0xb5ac, v29
	v_add_f16_e32 v33, v44, v33
	v_add_f16_e32 v44, v49, v45
	v_fma_f16 v45, v51, 0xb5ac, -v123
	v_pk_add_f16 v5, v8, v5
	v_add_f16_e32 v103, v106, v103
	v_fmamk_f16 v106, v30, 0xbbc4, v111
	v_add_f16_e32 v118, v122, v118
	v_fmamk_f16 v122, v30, 0x388b, v125
	v_mul_f16_e32 v126, 0xb94e, v23
	v_add_f16_e32 v115, v120, v115
	v_fma_f16 v120, v21, 0x388b, -v46
	v_add_f16_e32 v48, v97, v4
	v_fmac_f16_e32 v116, 0xb9fd, v40
	v_add_f16_e32 v44, v45, v44
	v_fma_f16 v45, v53, 0x3b15, -v124
	v_pk_add_f16 v5, v9, v5
	v_add_f16_e32 v103, v106, v103
	v_mul_f16_e32 v106, 0x388b, v19
	v_add_f16_e32 v118, v122, v118
	v_fmamk_f16 v122, v19, 0xb9fd, v126
	v_add_f16_e32 v115, v120, v115
	v_pk_mul_f16 v120, 0x388b2fb7, v29
	v_add_f16_e32 v48, v116, v48
	v_fmac_f16_e32 v121, 0x3b15, v43
	v_fma_f16 v49, v30, 0xbbc4, -v111
	v_add_f16_e32 v44, v45, v44
	v_fma_f16 v30, v30, 0x388b, -v125
	v_pk_add_f16 v5, v6, v5
	v_fmamk_f16 v117, v23, 0x3a95, v106
	v_mul_f16_sdwa v25, v12, v25 dst_sel:DWORD dst_unused:UNUSED_PAD src0_sel:WORD_1 src1_sel:DWORD
	v_add_f16_e32 v118, v122, v118
	v_pk_mul_f16 v122, 0xb5acbbc4, v40
	v_add_f16_e32 v48, v121, v48
	v_fmac_f16_e32 v27, 0x2fb7, v47
	v_pk_fma_f16 v50, 0xbbf1ba95, v12, v120 op_sel:[0,0,1] op_sel_hi:[1,1,0]
	v_add_f16_e32 v30, v30, v44
	v_fma_f16 v10, v19, 0xb9fd, -v126
	v_pk_fma_f16 v11, 0xbbf1ba95, v12, v120 op_sel:[0,0,1] op_sel_hi:[1,1,0] neg_lo:[0,1,0] neg_hi:[0,1,0]
	v_pk_add_f16 v5, v7, v5
	v_add_f16_e32 v103, v117, v103
	v_fma_f16 v117, v29, 0x388b, -v25
	v_mul_f16_sdwa v26, v17, v26 dst_sel:DWORD dst_unused:UNUSED_PAD src0_sel:WORD_1 src1_sel:DWORD
	v_pk_mul_f16 v128, 0xbbc4b5ac, v43
	v_fmac_f16_e32 v18, 0xb9fd, v29
	v_add_f16_e32 v27, v27, v48
	v_fmac_f16_e32 v42, 0xbbc4, v31
	v_pk_add_f16 v48, v50, v39
	v_pk_fma_f16 v51, 0xb3a8bb7b, v17, v122 op_sel:[0,0,1] op_sel_hi:[1,1,0]
	v_add_f16_e32 v10, v10, v30
	v_fmac_f16_e32 v25, 0x388b, v29
	v_pk_fma_f16 v8, 0xb3a8bb7b, v17, v122 op_sel:[0,0,1] op_sel_hi:[1,1,0] neg_lo:[0,1,0] neg_hi:[0,1,0]
	v_add_f16_e32 v30, v11, v39
	v_pk_add_f16 v2, v2, v5
	v_bfi_b32 v5, 0xffff, v50, v11
	v_add_f16_e32 v117, v117, v4
	v_fma_f16 v127, v40, 0xb5ac, -v26
	v_mul_f16_sdwa v14, v28, v14 dst_sel:DWORD dst_unused:UNUSED_PAD src0_sel:WORD_1 src1_sel:DWORD
	v_pk_mul_f16 v59, 0xb9fd3b15, v47
	v_add_f16_e32 v18, v18, v4
	v_add_f16_e32 v27, v42, v27
	v_fmac_f16_e32 v46, 0x388b, v21
	v_pk_add_f16 v42, v51, v48
	v_pk_fma_f16 v45, 0x3b7bb3a8, v28, v128 op_sel:[0,0,1] op_sel_hi:[1,1,0]
	v_add_f16_e32 v4, v25, v4
	v_fmac_f16_e32 v26, 0xb5ac, v40
	v_pk_fma_f16 v25, 0x3b7bb3a8, v28, v128 op_sel:[0,0,1] op_sel_hi:[1,1,0] neg_lo:[0,1,0] neg_hi:[0,1,0]
	v_add_f16_e32 v30, v8, v30
	v_pk_add_f16 v2, v3, v2
	v_pk_add_f16 v3, v5, v39
	v_bfi_b32 v5, 0xffff, v51, v8
	v_add_f16_e32 v117, v127, v117
	v_fma_f16 v127, v43, 0xbbc4, -v14
	v_pk_mul_f16 v86, 0x2fb7388b, v31
	v_add_f16_e32 v19, v46, v27
	v_pk_add_f16 v27, v45, v42
	v_pk_fma_f16 v42, 0x3770394e, v35, v59 op_sel:[0,0,1] op_sel_hi:[1,1,0]
	v_add_f16_e32 v4, v26, v4
	v_fmac_f16_e32 v14, 0xbbc4, v43
	v_pk_fma_f16 v6, 0x3770394e, v35, v59 op_sel:[0,0,1] op_sel_hi:[1,1,0] neg_lo:[0,1,0] neg_hi:[0,1,0]
	v_add_f16_e32 v30, v25, v30
	v_pk_add_f16 v3, v5, v3
	v_bfi_b32 v5, 0xffff, v45, v25
	v_pk_mul_f16 v61, 0x3b15b9fd, v21
	v_pk_fma_f16 v9, 0xba953bf1, v13, v86 op_sel:[0,0,1] op_sel_hi:[1,1,0]
	v_pk_fma_f16 v26, 0xba953bf1, v13, v86 op_sel:[0,0,1] op_sel_hi:[1,1,0] neg_lo:[0,1,0] neg_hi:[0,1,0]
	v_add_f16_e32 v4, v14, v4
	v_add_f16_e32 v14, v6, v30
	v_pk_add_f16 v0, v0, v2
	v_pk_add_f16 v3, v5, v3
	v_bfi_b32 v5, 0xffff, v42, v6
	v_pk_fma_f16 v7, 0xb94e3770, v23, v61 op_sel:[0,0,1] op_sel_hi:[1,1,0] neg_lo:[0,1,0] neg_hi:[0,1,0]
	v_add_f16_e32 v11, v26, v14
	v_pk_add_f16 v0, v1, v0
	v_pk_mul_f16 v8, 0xbbc4, v29 op_sel_hi:[0,1]
	v_pk_add_f16 v3, v5, v3
	v_bfi_b32 v5, 0xffff, v9, v26
	v_add_f16_e32 v2, v7, v11
	v_lshl_add_u32 v1, v81, 2, v79
	v_pk_add_f16 v0, v24, v0
	v_pack_b32_f16 v6, v20, v32
	v_pk_fma_f16 v11, 0xb3a8, v12, v8 op_sel:[0,0,1] op_sel_hi:[0,1,0] neg_lo:[0,1,0] neg_hi:[0,1,0]
	v_pk_mul_f16 v14, 0x3b15, v40 op_sel_hi:[0,1]
	v_pk_add_f16 v3, v5, v3
	v_pk_fma_f16 v5, 0xb3a8, v12, v8 op_sel:[0,0,1] op_sel_hi:[0,1,0]
	v_mul_f16_sdwa v15, v35, v15 dst_sel:DWORD dst_unused:UNUSED_PAD src0_sel:WORD_1 src1_sel:DWORD
	ds_write2_b32 v1, v0, v6 offset1:1
	v_pk_add_f16 v0, v11, v39
	v_pk_fma_f16 v6, 0x3770, v17, v14 op_sel:[0,0,1] op_sel_hi:[0,1,0] neg_lo:[0,1,0] neg_hi:[0,1,0]
	v_pk_mul_f16 v11, 0xb9fd, v43 op_sel_hi:[0,1]
	v_pk_add_f16 v5, v5, v39
	v_pk_fma_f16 v14, 0x3770, v17, v14 op_sel:[0,0,1] op_sel_hi:[0,1,0]
	v_fmac_f16_e32 v98, 0x2fb7, v40
	v_add_f16_e32 v117, v127, v117
	v_fma_f16 v127, v47, 0xb9fd, -v15
	v_mul_f16_sdwa v41, v13, v41 dst_sel:DWORD dst_unused:UNUSED_PAD src0_sel:WORD_1 src1_sel:DWORD
	v_pk_fma_f16 v8, 0xb94e3770, v23, v61 op_sel:[0,0,1] op_sel_hi:[1,1,0]
	v_pk_add_f16 v0, v6, v0
	v_pk_fma_f16 v6, 0xb94e, v28, v11 op_sel:[0,0,1] op_sel_hi:[0,1,0] neg_lo:[0,1,0] neg_hi:[0,1,0]
	v_pk_mul_f16 v12, 0x388b, v47 op_sel_hi:[0,1]
	v_pk_add_f16 v5, v14, v5
	v_pk_fma_f16 v11, 0xb94e, v28, v11 op_sel:[0,0,1] op_sel_hi:[0,1,0]
	v_add_f16_e32 v18, v98, v18
	v_fmac_f16_e32 v101, 0x388b, v43
	v_mul_f16_e32 v114, 0x3a95, v23
	v_pk_add_f16 v27, v42, v27
	v_add_f16_e32 v90, v127, v117
	v_fma_f16 v117, v31, 0x2fb7, -v41
	v_mul_f16_sdwa v16, v23, v16 dst_sel:DWORD dst_unused:UNUSED_PAD src0_sel:WORD_1 src1_sel:DWORD
	v_bfi_b32 v7, 0xffff, v8, v7
	v_pk_add_f16 v0, v6, v0
	v_pk_fma_f16 v6, 0x3a95, v35, v12 op_sel:[0,0,1] op_sel_hi:[0,1,0] neg_lo:[0,1,0] neg_hi:[0,1,0]
	v_pk_mul_f16 v8, 0xb5ac, v31 op_sel_hi:[0,1]
	v_pk_add_f16 v5, v11, v5
	v_pk_fma_f16 v11, 0x3a95, v35, v12 op_sel:[0,0,1] op_sel_hi:[0,1,0]
	v_add_f16_e32 v18, v101, v18
	v_fmac_f16_e32 v105, 0xbbc4, v47
	v_pk_mul_f16 v62, 0xb94e3770, v23
	v_bfi_b32 v14, 0xffff, v114, v27
	v_fmac_f16_e32 v15, 0xb9fd, v47
	v_add_f16_e32 v54, v117, v90
	v_fma_f16 v90, v21, 0x3b15, -v16
	v_pk_add_f16 v3, v7, v3
	v_pk_add_f16 v0, v6, v0
	v_pk_fma_f16 v6, 0xbb7b, v13, v8 op_sel:[0,0,1] op_sel_hi:[0,1,0] neg_lo:[0,1,0] neg_hi:[0,1,0]
	v_pk_mul_f16 v7, 0x2fb7, v21 op_sel_hi:[0,1]
	v_pk_add_f16 v5, v11, v5
	v_pk_fma_f16 v8, 0xbb7b, v13, v8 op_sel:[0,0,1] op_sel_hi:[0,1,0]
	v_add_f16_e32 v18, v105, v18
	v_fmac_f16_e32 v108, 0x3b15, v31
	v_pk_add_f16 v11, v106, v14 neg_lo:[0,1] neg_hi:[0,1]
	v_pk_add_f16 v9, v9, v27
	v_pack_b32_f16 v13, v49, v61
	v_bfi_b32 v14, 0xffff, v33, v62
	v_add_f16_e32 v4, v15, v4
	v_fmac_f16_e32 v41, 0x2fb7, v31
	v_add_f16_e32 v54, v90, v54
	v_pk_add_f16 v0, v6, v0
	v_pk_fma_f16 v6, 0x3bf1, v23, v7 op_sel:[0,0,1] op_sel_hi:[0,1,0] neg_lo:[0,1,0] neg_hi:[0,1,0]
	v_pk_add_f16 v5, v8, v5
	v_pk_fma_f16 v7, 0x3bf1, v23, v7 op_sel:[0,0,1] op_sel_hi:[0,1,0]
	v_add_f16_e32 v18, v108, v18
	v_fmac_f16_e32 v110, 0xb5ac, v21
	v_bfi_b32 v8, 0xffff, v11, v9
	v_pk_add_f16 v9, v13, v14
	v_add_f16_e32 v4, v41, v4
	v_fmac_f16_e32 v16, 0x3b15, v21
	v_alignbit_b32 v12, v118, v3, 16
	v_pack_b32_f16 v3, v54, v3
	v_pk_add_f16 v0, v6, v0
	v_pk_add_f16 v5, v7, v5
	v_add_f16_e32 v18, v110, v18
	v_pk_add_f16 v6, v8, v9
	v_add_f16_e32 v4, v16, v4
	ds_write2_b32 v1, v3, v12 offset0:2 offset1:3
	v_pack_b32_f16 v3, v95, v80
	v_pack_b32_f16 v7, v115, v103
	v_alignbit_b32 v8, v0, v5, 16
	v_alignbit_b32 v0, v5, v0, 16
	v_pack_b32_f16 v5, v18, v34
	v_alignbit_b32 v9, v10, v6, 16
	v_pack_b32_f16 v6, v19, v6
	v_pack_b32_f16 v2, v4, v2
	v_perm_b32 v4, v83, v84, 0x5040100
	ds_write2_b32 v1, v7, v3 offset0:4 offset1:5
	ds_write2_b32 v1, v0, v8 offset0:6 offset1:7
	ds_write_b32 v1, v5 offset:32
	ds_write2_b32 v1, v6, v9 offset0:9 offset1:10
	ds_write2_b32 v1, v2, v4 offset0:11 offset1:12
.LBB0_7:
	s_or_b32 exec_lo, exec_lo, s2
	v_add_co_u32 v23, null, v75, 26
	v_add_co_u32 v39, null, v75, 39
	;; [unrolled: 1-line block ×3, first 2 shown]
	v_and_b32_e32 v4, 0xff, v23
	v_and_b32_e32 v5, 0xff, v39
	v_lshlrev_b32_e32 v24, 4, v75
	v_and_b32_e32 v6, 0xff, v40
	s_waitcnt lgkmcnt(0)
	v_mul_lo_u16 v4, 0x4f, v4
	v_mul_lo_u16 v5, 0x4f, v5
	s_barrier
	buffer_gl0_inv
	global_load_dwordx4 v[0:3], v24, s[0:1]
	v_lshrrev_b16 v4, 10, v4
	v_lshrrev_b16 v5, 10, v5
	v_add_nc_u32_e32 v53, 0x400, v64
	v_mul_lo_u16 v4, v4, 13
	v_mul_lo_u16 v5, v5, 13
	v_sub_nc_u16 v27, v23, v4
	v_mul_lo_u16 v4, 0x4f, v6
	v_sub_nc_u16 v26, v39, v5
	v_lshlrev_b16 v6, 2, v27
	v_lshrrev_b16 v4, 10, v4
	v_and_b32_e32 v27, 0xff, v27
	v_and_b32_e32 v5, 0xfc, v6
	v_mul_lo_u16 v4, v4, 13
	v_lshlrev_b16 v6, 2, v26
	v_lshlrev_b32_e32 v5, 2, v5
	v_sub_nc_u16 v25, v40, v4
	v_and_b32_e32 v4, 0xfc, v6
	global_load_dwordx4 v[12:15], v5, s[0:1]
	v_lshlrev_b32_e32 v4, 2, v4
	global_load_dwordx4 v[8:11], v4, s[0:1]
	v_lshlrev_b16 v5, 2, v25
	v_and_b32_e32 v5, 0xfc, v5
	v_lshlrev_b32_e32 v4, 2, v5
	global_load_dwordx4 v[4:7], v4, s[0:1]
	ds_read2_b32 v[20:21], v64 offset1:13
	ds_read2_b32 v[16:17], v64 offset0:52 offset1:65
	ds_read2_b32 v[33:34], v64 offset0:130 offset1:143
	;; [unrolled: 1-line block ×9, first 2 shown]
	ds_read_b32 v35, v64 offset:1248
	ds_read2_b32 v[56:57], v53 offset0:4 offset1:17
	ds_read2_b32 v[58:59], v53 offset0:30 offset1:43
	s_waitcnt vmcnt(0) lgkmcnt(0)
	s_barrier
	buffer_gl0_inv
	v_lshrrev_b32_e32 v32, 16, v20
	v_lshrrev_b32_e32 v51, 16, v17
	;; [unrolled: 1-line block ×25, first 2 shown]
	v_mul_f16_sdwa v100, v51, v0 dst_sel:DWORD dst_unused:UNUSED_PAD src0_sel:DWORD src1_sel:WORD_1
	v_mul_f16_sdwa v102, v60, v1 dst_sel:DWORD dst_unused:UNUSED_PAD src0_sel:DWORD src1_sel:WORD_1
	;; [unrolled: 1-line block ×13, first 2 shown]
	v_fma_f16 v17, v17, v0, -v100
	v_fma_f16 v33, v33, v1, -v102
	;; [unrolled: 1-line block ×3, first 2 shown]
	v_mul_f16_sdwa v108, v62, v0 dst_sel:DWORD dst_unused:UNUSED_PAD src0_sel:DWORD src1_sel:WORD_1
	v_mul_f16_sdwa v110, v80, v1 dst_sel:DWORD dst_unused:UNUSED_PAD src0_sel:DWORD src1_sel:WORD_1
	;; [unrolled: 1-line block ×3, first 2 shown]
	v_fmac_f16_e32 v101, v51, v0
	v_fmac_f16_e32 v103, v60, v1
	;; [unrolled: 1-line block ×3, first 2 shown]
	v_fma_f16 v51, v56, v3, -v106
	v_fmac_f16_e32 v107, v96, v3
	v_fmac_f16_e32 v109, v62, v0
	;; [unrolled: 1-line block ×4, first 2 shown]
	v_fma_f16 v56, v57, v3, -v114
	v_fmac_f16_e32 v115, v97, v3
	v_add_f16_e32 v57, v20, v17
	v_add_f16_e32 v60, v33, v42
	v_fma_f16 v43, v43, v0, -v108
	v_fma_f16 v34, v34, v1, -v110
	;; [unrolled: 1-line block ×3, first 2 shown]
	v_sub_f16_e32 v61, v101, v107
	v_sub_f16_e32 v80, v17, v33
	;; [unrolled: 1-line block ×3, first 2 shown]
	v_add_f16_e32 v96, v17, v51
	v_sub_f16_e32 v97, v33, v17
	v_sub_f16_e32 v100, v42, v51
	v_add_f16_e32 v102, v32, v101
	v_add_f16_e32 v104, v103, v105
	v_sub_f16_e32 v106, v33, v42
	v_sub_f16_e32 v108, v101, v103
	;; [unrolled: 1-line block ×3, first 2 shown]
	v_add_f16_e32 v126, v111, v113
	v_add_f16_e32 v130, v109, v115
	;; [unrolled: 1-line block ×3, first 2 shown]
	v_fma_f16 v57, -0.5, v60, v20
	v_sub_f16_e32 v62, v103, v105
	v_sub_f16_e32 v17, v17, v51
	v_add_f16_e32 v112, v101, v107
	v_sub_f16_e32 v101, v103, v101
	v_sub_f16_e32 v114, v105, v107
	v_add_f16_e32 v116, v21, v43
	v_add_f16_e32 v117, v34, v45
	;; [unrolled: 1-line block ×4, first 2 shown]
	v_sub_f16_e32 v127, v34, v45
	v_add_f16_e32 v60, v80, v85
	v_fma_f16 v20, -0.5, v96, v20
	v_add_f16_e32 v80, v97, v100
	v_add_f16_e32 v85, v102, v103
	v_fma_f16 v96, -0.5, v104, v32
	v_add_f16_e32 v97, v108, v110
	v_fma_f16 v108, -0.5, v126, v31
	v_fmac_f16_e32 v31, -0.5, v130
	v_add_f16_e32 v33, v33, v42
	v_fmamk_f16 v42, v61, 0x3b9c, v57
	v_fmac_f16_e32 v57, 0xbb9c, v61
	v_sub_f16_e32 v118, v109, v115
	v_sub_f16_e32 v119, v111, v113
	;; [unrolled: 1-line block ×8, first 2 shown]
	v_fmac_f16_e32 v32, -0.5, v112
	v_add_f16_e32 v100, v101, v114
	v_add_f16_e32 v34, v116, v34
	v_fma_f16 v101, -0.5, v117, v21
	v_fmac_f16_e32 v21, -0.5, v122
	v_add_f16_e32 v104, v125, v111
	v_fmamk_f16 v111, v62, 0xbb9c, v20
	v_fmac_f16_e32 v20, 0x3b9c, v62
	v_add_f16_e32 v85, v85, v105
	v_fmamk_f16 v105, v17, 0xbb9c, v96
	v_fmac_f16_e32 v96, 0x3b9c, v17
	v_fmamk_f16 v116, v127, 0x3b9c, v31
	v_fmac_f16_e32 v31, 0xbb9c, v127
	v_fmac_f16_e32 v42, 0x38b4, v62
	;; [unrolled: 1-line block ×3, first 2 shown]
	v_sub_f16_e32 v121, v56, v45
	v_sub_f16_e32 v124, v45, v56
	;; [unrolled: 1-line block ×3, first 2 shown]
	v_add_f16_e32 v109, v109, v131
	v_fmamk_f16 v112, v106, 0x3b9c, v32
	v_fmac_f16_e32 v32, 0xbb9c, v106
	v_add_f16_e32 v34, v34, v45
	v_fmamk_f16 v45, v118, 0x3b9c, v101
	v_fmac_f16_e32 v101, 0xbb9c, v118
	v_fmamk_f16 v114, v119, 0xbb9c, v21
	v_fmac_f16_e32 v21, 0x3b9c, v119
	v_add_f16_e32 v104, v104, v113
	v_fmamk_f16 v113, v43, 0xbb9c, v108
	v_fmac_f16_e32 v108, 0x3b9c, v43
	v_fmac_f16_e32 v111, 0x38b4, v61
	;; [unrolled: 1-line block ×9, first 2 shown]
	v_mul_f16_sdwa v43, v86, v12 dst_sel:DWORD dst_unused:UNUSED_PAD src0_sel:DWORD src1_sel:WORD_1
	v_mul_f16_sdwa v60, v87, v13 dst_sel:DWORD dst_unused:UNUSED_PAD src0_sel:DWORD src1_sel:WORD_1
	;; [unrolled: 1-line block ×3, first 2 shown]
	v_add_f16_e32 v102, v120, v121
	v_add_f16_e32 v103, v123, v124
	;; [unrolled: 1-line block ×5, first 2 shown]
	v_fmac_f16_e32 v112, 0xb8b4, v17
	v_fmac_f16_e32 v32, 0x38b4, v17
	v_add_f16_e32 v17, v34, v56
	v_fmac_f16_e32 v45, 0x38b4, v119
	v_fmac_f16_e32 v101, 0xb8b4, v119
	;; [unrolled: 1-line block ×12, first 2 shown]
	v_mul_f16_sdwa v56, v44, v12 dst_sel:DWORD dst_unused:UNUSED_PAD src0_sel:DWORD src1_sel:WORD_1
	v_mul_f16_sdwa v80, v46, v14 dst_sel:DWORD dst_unused:UNUSED_PAD src0_sel:DWORD src1_sel:WORD_1
	;; [unrolled: 1-line block ×5, first 2 shown]
	v_fma_f16 v43, v44, v12, -v43
	v_fma_f16 v44, v47, v13, -v60
	;; [unrolled: 1-line block ×3, first 2 shown]
	v_add_f16_e32 v34, v104, v115
	v_fmac_f16_e32 v112, 0x34f2, v100
	v_fmac_f16_e32 v32, 0x34f2, v100
	;; [unrolled: 1-line block ×8, first 2 shown]
	v_mul_f16_sdwa v61, v47, v13 dst_sel:DWORD dst_unused:UNUSED_PAD src0_sel:DWORD src1_sel:WORD_1
	v_mul_f16_sdwa v100, v89, v8 dst_sel:DWORD dst_unused:UNUSED_PAD src0_sel:DWORD src1_sel:WORD_1
	;; [unrolled: 1-line block ×10, first 2 shown]
	v_fmac_f16_e32 v56, v86, v12
	v_fma_f16 v47, v58, v15, -v85
	v_fmac_f16_e32 v97, v98, v15
	v_fma_f16 v58, v59, v11, -v109
	v_add_f16_e32 v59, v18, v43
	v_add_f16_e32 v60, v44, v46
	v_mul_f16_sdwa v117, v50, v4 dst_sel:DWORD dst_unused:UNUSED_PAD src0_sel:DWORD src1_sel:WORD_1
	v_mul_f16_sdwa v118, v93, v5 dst_sel:DWORD dst_unused:UNUSED_PAD src0_sel:DWORD src1_sel:WORD_1
	;; [unrolled: 1-line block ×4, first 2 shown]
	v_fmac_f16_e32 v61, v87, v13
	v_fmac_f16_e32 v80, v88, v14
	v_fma_f16 v49, v49, v8, -v100
	v_fmac_f16_e32 v102, v89, v8
	v_fma_f16 v48, v48, v9, -v103
	;; [unrolled: 2-line block ×3, first 2 shown]
	v_fmac_f16_e32 v107, v91, v10
	v_fmac_f16_e32 v110, v99, v11
	v_fma_f16 v50, v50, v4, -v115
	v_fmac_f16_e32 v119, v93, v5
	v_sub_f16_e32 v62, v56, v97
	v_sub_f16_e32 v86, v43, v44
	v_add_f16_e32 v88, v43, v47
	v_sub_f16_e32 v89, v44, v43
	v_add_f16_e32 v91, v30, v56
	;; [unrolled: 2-line block ×3, first 2 shown]
	v_fma_f16 v59, -0.5, v60, v18
	v_mul_f16_sdwa v120, v94, v6 dst_sel:DWORD dst_unused:UNUSED_PAD src0_sel:DWORD src1_sel:WORD_1
	v_mul_f16_sdwa v122, v95, v7 dst_sel:DWORD dst_unused:UNUSED_PAD src0_sel:DWORD src1_sel:WORD_1
	v_fmac_f16_e32 v117, v92, v4
	v_fma_f16 v41, v41, v5, -v118
	v_fmac_f16_e32 v121, v94, v6
	v_fmac_f16_e32 v123, v95, v7
	v_sub_f16_e32 v85, v61, v80
	v_sub_f16_e32 v87, v47, v46
	;; [unrolled: 1-line block ×3, first 2 shown]
	v_add_f16_e32 v92, v61, v80
	v_sub_f16_e32 v94, v56, v61
	v_sub_f16_e32 v95, v97, v80
	v_add_f16_e32 v98, v56, v97
	v_sub_f16_e32 v56, v61, v56
	v_sub_f16_e32 v99, v80, v97
	v_add_f16_e32 v100, v19, v49
	v_add_f16_e32 v103, v48, v54
	;; [unrolled: 1-line block ×5, first 2 shown]
	v_fma_f16 v18, -0.5, v88, v18
	v_add_f16_e32 v61, v91, v61
	v_add_f16_e32 v44, v44, v46
	v_fmamk_f16 v46, v62, 0x3b9c, v59
	v_fmac_f16_e32 v59, 0xbb9c, v62
	v_fma_f16 v55, v55, v6, -v120
	v_fma_f16 v35, v35, v7, -v122
	v_sub_f16_e32 v115, v49, v48
	v_sub_f16_e32 v118, v58, v54
	;; [unrolled: 1-line block ×3, first 2 shown]
	v_add_f16_e32 v125, v29, v102
	v_sub_f16_e32 v127, v48, v54
	v_add_f16_e32 v60, v86, v87
	v_add_f16_e32 v86, v89, v90
	v_fma_f16 v87, -0.5, v92, v30
	v_add_f16_e32 v88, v94, v95
	v_fmac_f16_e32 v30, -0.5, v98
	v_add_f16_e32 v56, v56, v99
	v_add_f16_e32 v48, v100, v48
	v_fma_f16 v89, -0.5, v103, v19
	v_fma_f16 v94, -0.5, v126, v29
	v_fmac_f16_e32 v29, -0.5, v130
	v_add_f16_e32 v99, v132, v41
	v_fmamk_f16 v103, v85, 0xbb9c, v18
	v_fmac_f16_e32 v18, 0x3b9c, v85
	v_add_f16_e32 v61, v61, v80
	v_fmac_f16_e32 v46, 0x38b4, v85
	v_fmac_f16_e32 v59, 0xb8b4, v85
	v_sub_f16_e32 v43, v43, v47
	v_sub_f16_e32 v106, v102, v110
	;; [unrolled: 1-line block ×3, first 2 shown]
	v_add_f16_e32 v120, v49, v58
	v_sub_f16_e32 v49, v49, v58
	v_sub_f16_e32 v128, v102, v104
	;; [unrolled: 1-line block ×3, first 2 shown]
	v_add_f16_e32 v90, v115, v118
	v_add_f16_e32 v92, v125, v104
	v_fmamk_f16 v104, v93, 0x3b9c, v30
	v_fmac_f16_e32 v30, 0xbb9c, v93
	v_add_f16_e32 v48, v48, v54
	v_fmamk_f16 v118, v127, 0x3b9c, v29
	v_fmac_f16_e32 v29, 0xbb9c, v127
	v_add_f16_e32 v99, v99, v55
	v_add_f16_e32 v44, v44, v47
	v_fmac_f16_e32 v103, 0x38b4, v62
	v_fmac_f16_e32 v18, 0xb8b4, v62
	v_add_f16_e32 v47, v61, v97
	v_fmac_f16_e32 v46, 0x34f2, v60
	v_fmac_f16_e32 v59, 0x34f2, v60
	v_sub_f16_e32 v60, v41, v50
	v_sub_f16_e32 v61, v55, v35
	v_add_f16_e32 v62, v28, v117
	v_sub_f16_e32 v124, v54, v58
	v_sub_f16_e32 v129, v110, v107
	;; [unrolled: 1-line block ×5, first 2 shown]
	v_add_f16_e32 v138, v50, v35
	v_fmamk_f16 v80, v43, 0xbb9c, v87
	v_fmac_f16_e32 v87, 0x3b9c, v43
	v_add_f16_e32 v92, v92, v107
	v_fmamk_f16 v107, v49, 0xbb9c, v94
	v_fmac_f16_e32 v94, 0x3b9c, v49
	v_fmac_f16_e32 v104, 0xb8b4, v43
	;; [unrolled: 1-line block ×3, first 2 shown]
	v_add_f16_e32 v43, v48, v58
	v_fmac_f16_e32 v118, 0xb8b4, v49
	v_fmac_f16_e32 v29, 0x38b4, v49
	v_add_f16_e32 v49, v99, v35
	v_add_f16_e32 v58, v119, v121
	v_sub_f16_e32 v35, v50, v35
	v_add_f16_e32 v50, v60, v61
	v_add_f16_e32 v60, v62, v119
	;; [unrolled: 1-line block ×4, first 2 shown]
	v_fma_f16 v58, -0.5, v58, v28
	v_sub_f16_e32 v41, v41, v55
	v_sub_f16_e32 v135, v119, v121
	v_fmac_f16_e32 v28, -0.5, v62
	v_fma_f16 v100, -0.5, v133, v16
	v_fmac_f16_e32 v16, -0.5, v138
	v_sub_f16_e32 v134, v117, v123
	v_fmac_f16_e32 v80, 0xb8b4, v93
	v_fmamk_f16 v62, v41, 0x3b9c, v28
	v_fmac_f16_e32 v28, 0xbb9c, v41
	v_fmac_f16_e32 v104, 0x34f2, v56
	;; [unrolled: 1-line block ×3, first 2 shown]
	v_fmamk_f16 v56, v135, 0xbb9c, v16
	v_fmac_f16_e32 v16, 0x3b9c, v135
	v_fmamk_f16 v61, v35, 0xbb9c, v58
	v_fmac_f16_e32 v58, 0x3b9c, v35
	v_fmac_f16_e32 v62, 0xb8b4, v35
	;; [unrolled: 1-line block ×3, first 2 shown]
	v_pack_b32_f16 v33, v33, v51
	v_pack_b32_f16 v35, v42, v105
	v_fmac_f16_e32 v19, -0.5, v120
	v_fmamk_f16 v54, v106, 0x3b9c, v89
	v_fmac_f16_e32 v103, 0x34f2, v86
	v_fmac_f16_e32 v18, 0x34f2, v86
	;; [unrolled: 1-line block ×5, first 2 shown]
	v_sub_f16_e32 v85, v119, v117
	v_sub_f16_e32 v86, v121, v123
	ds_write2_b32 v64, v33, v35 offset1:13
	v_pack_b32_f16 v33, v111, v112
	v_pack_b32_f16 v20, v20, v32
	;; [unrolled: 1-line block ×6, first 2 shown]
	v_fmamk_f16 v115, v109, 0xbb9c, v19
	v_fmac_f16_e32 v19, 0x3b9c, v109
	v_pack_b32_f16 v21, v21, v31
	v_pack_b32_f16 v31, v101, v108
	v_fmac_f16_e32 v89, 0xbb9c, v106
	v_fmac_f16_e32 v87, 0x38b4, v93
	v_add_f16_e32 v95, v128, v129
	v_fmamk_f16 v120, v134, 0x3b9c, v100
	v_fmac_f16_e32 v54, 0x38b4, v109
	v_fmac_f16_e32 v107, 0xb8b4, v127
	;; [unrolled: 1-line block ×4, first 2 shown]
	v_add_f16_e32 v50, v60, v121
	v_fmac_f16_e32 v61, 0xb8b4, v41
	v_sub_f16_e32 v55, v117, v119
	v_sub_f16_e32 v60, v123, v121
	v_fmac_f16_e32 v58, 0x38b4, v41
	v_add_f16_e32 v41, v85, v86
	ds_write2_b32 v64, v33, v20 offset0:26 offset1:39
	ds_write2_b32 v64, v32, v17 offset0:52 offset1:65
	ds_write2_b32 v64, v34, v35 offset0:78 offset1:91
	ds_write2_b32 v64, v21, v31 offset0:104 offset1:117
	v_lshl_add_u32 v86, v27, 2, v79
	v_pack_b32_f16 v17, v44, v47
	v_pack_b32_f16 v21, v46, v80
	v_fmac_f16_e32 v100, 0xbb9c, v134
	v_add_f16_e32 v91, v122, v124
	v_add_f16_e32 v98, v102, v131
	v_fmac_f16_e32 v115, 0x38b4, v106
	v_fmac_f16_e32 v19, 0xb8b4, v106
	;; [unrolled: 1-line block ×5, first 2 shown]
	v_add_f16_e32 v102, v136, v137
	v_add_f16_e32 v48, v92, v110
	v_fmac_f16_e32 v120, 0x38b4, v135
	v_fmac_f16_e32 v54, 0x34f2, v90
	;; [unrolled: 1-line block ×3, first 2 shown]
	v_add_f16_e32 v55, v55, v60
	v_and_b32_e32 v20, 0xff, v26
	ds_write2_b32 v86, v17, v21 offset0:130 offset1:143
	v_and_b32_e32 v17, 0xff, v25
	v_fmac_f16_e32 v100, 0xb8b4, v135
	v_fmac_f16_e32 v115, 0x34f2, v91
	;; [unrolled: 1-line block ×5, first 2 shown]
	v_pack_b32_f16 v26, v103, v104
	v_pack_b32_f16 v18, v18, v30
	v_fmac_f16_e32 v89, 0x34f2, v90
	v_fmac_f16_e32 v94, 0x34f2, v95
	v_pack_b32_f16 v27, v59, v87
	v_fmac_f16_e32 v120, 0x34f2, v102
	v_add_f16_e32 v50, v50, v123
	v_fmac_f16_e32 v61, 0x34f2, v55
	v_lshl_add_u32 v85, v20, 2, v79
	v_pack_b32_f16 v20, v43, v48
	v_pack_b32_f16 v30, v54, v107
	v_lshl_add_u32 v87, v17, 2, v79
	v_fmac_f16_e32 v62, 0x34f2, v41
	v_fmac_f16_e32 v28, 0x34f2, v41
	;; [unrolled: 1-line block ×4, first 2 shown]
	ds_write2_b32 v86, v26, v18 offset0:156 offset1:169
	ds_write_b32 v86, v27 offset:728
	ds_write2_b32 v85, v20, v30 offset0:195 offset1:208
	v_pack_b32_f16 v18, v115, v118
	v_pack_b32_f16 v17, v19, v29
	v_pack_b32_f16 v19, v89, v94
	v_pack_b32_f16 v20, v49, v50
	v_pack_b32_f16 v21, v120, v61
	v_add_nc_u32_e32 v25, 0x400, v87
	v_pack_b32_f16 v26, v56, v62
	v_pack_b32_f16 v16, v16, v28
	;; [unrolled: 1-line block ×3, first 2 shown]
	ds_write2_b32 v85, v18, v17 offset0:221 offset1:234
	ds_write_b32 v85, v19 offset:988
	ds_write2_b32 v25, v20, v21 offset0:4 offset1:17
	ds_write2_b32 v25, v26, v16 offset0:30 offset1:43
	ds_write_b32 v87, v27 offset:1248
	v_lshlrev_b32_e32 v16, 4, v22
	s_waitcnt lgkmcnt(0)
	s_barrier
	buffer_gl0_inv
	s_clause 0x1
	global_load_dwordx4 v[28:31], v24, s[0:1] offset:208
	global_load_dwordx4 v[32:35], v16, s[0:1] offset:208
	v_lshlrev_b32_e32 v16, 4, v23
	global_load_dwordx4 v[24:27], v16, s[0:1] offset:208
	v_lshlrev_b32_e32 v16, 4, v39
	;; [unrolled: 2-line block ×3, first 2 shown]
	global_load_dwordx4 v[16:19], v16, s[0:1] offset:208
	ds_read2_b32 v[50:51], v64 offset1:13
	ds_read2_b32 v[39:40], v64 offset0:52 offset1:65
	ds_read2_b32 v[43:44], v64 offset0:130 offset1:143
	;; [unrolled: 1-line block ×11, first 2 shown]
	ds_read_b32 v49, v64 offset:1248
	s_add_u32 s0, s16, 0x514
	s_addc_u32 s1, s17, 0
	s_waitcnt lgkmcnt(12)
	v_lshrrev_b32_e32 v55, 16, v50
	s_waitcnt lgkmcnt(11)
	v_lshrrev_b32_e32 v62, 16, v40
	;; [unrolled: 2-line block ×6, first 2 shown]
	v_lshrrev_b32_e32 v107, 16, v61
	v_lshrrev_b32_e32 v104, 16, v44
	s_waitcnt lgkmcnt(6)
	v_lshrrev_b32_e32 v105, 16, v92
	s_waitcnt lgkmcnt(3)
	v_lshrrev_b32_e32 v110, 16, v96
	v_lshrrev_b32_e32 v106, 16, v48
	;; [unrolled: 1-line block ×3, first 2 shown]
	s_waitcnt lgkmcnt(1)
	v_lshrrev_b32_e32 v117, 16, v101
	s_waitcnt lgkmcnt(0)
	v_lshrrev_b32_e32 v118, 16, v49
	v_lshrrev_b32_e32 v108, 16, v94
	;; [unrolled: 1-line block ×12, first 2 shown]
	s_waitcnt vmcnt(4)
	v_mul_f16_sdwa v119, v62, v28 dst_sel:DWORD dst_unused:UNUSED_PAD src0_sel:DWORD src1_sel:WORD_1
	v_mul_f16_sdwa v120, v40, v28 dst_sel:DWORD dst_unused:UNUSED_PAD src0_sel:DWORD src1_sel:WORD_1
	;; [unrolled: 1-line block ×8, first 2 shown]
	s_waitcnt vmcnt(3)
	v_mul_f16_sdwa v127, v103, v32 dst_sel:DWORD dst_unused:UNUSED_PAD src0_sel:DWORD src1_sel:WORD_1
	s_waitcnt vmcnt(2)
	v_mul_f16_sdwa v135, v107, v24 dst_sel:DWORD dst_unused:UNUSED_PAD src0_sel:DWORD src1_sel:WORD_1
	v_mul_f16_sdwa v141, v110, v27 dst_sel:DWORD dst_unused:UNUSED_PAD src0_sel:DWORD src1_sel:WORD_1
	;; [unrolled: 1-line block ×11, first 2 shown]
	s_waitcnt vmcnt(1)
	v_mul_f16_sdwa v148, v100, v22 dst_sel:DWORD dst_unused:UNUSED_PAD src0_sel:DWORD src1_sel:WORD_1
	s_waitcnt vmcnt(0)
	v_mul_f16_sdwa v152, v116, v17 dst_sel:DWORD dst_unused:UNUSED_PAD src0_sel:DWORD src1_sel:WORD_1
	v_mul_f16_sdwa v57, v45, v17 dst_sel:DWORD dst_unused:UNUSED_PAD src0_sel:DWORD src1_sel:WORD_1
	;; [unrolled: 1-line block ×4, first 2 shown]
	v_fma_f16 v40, v40, v28, -v119
	v_fmac_f16_e32 v120, v62, v28
	v_fma_f16 v43, v43, v29, -v121
	v_fmac_f16_e32 v122, v80, v29
	;; [unrolled: 2-line block ×4, first 2 shown]
	v_fma_f16 v88, v60, v32, -v127
	v_fma_f16 v102, v61, v24, -v135
	;; [unrolled: 1-line block ×3, first 2 shown]
	v_mul_f16_sdwa v134, v48, v35 dst_sel:DWORD dst_unused:UNUSED_PAD src0_sel:DWORD src1_sel:WORD_1
	v_mul_f16_sdwa v136, v61, v24 dst_sel:DWORD dst_unused:UNUSED_PAD src0_sel:DWORD src1_sel:WORD_1
	;; [unrolled: 1-line block ×12, first 2 shown]
	v_fmac_f16_e32 v128, v103, v32
	v_fma_f16 v44, v44, v33, -v129
	v_fmac_f16_e32 v130, v104, v33
	v_fma_f16 v92, v92, v34, -v131
	;; [unrolled: 2-line block ×3, first 2 shown]
	v_fmac_f16_e32 v138, v108, v25
	v_fmac_f16_e32 v140, v109, v26
	;; [unrolled: 1-line block ×3, first 2 shown]
	v_fma_f16 v60, v45, v17, -v152
	v_fmac_f16_e32 v57, v116, v17
	v_fma_f16 v61, v101, v18, -v153
	v_fma_f16 v80, v49, v19, -v154
	v_add_f16_e32 v45, v50, v40
	v_add_f16_e32 v49, v43, v46
	v_sub_f16_e32 v103, v40, v43
	v_sub_f16_e32 v104, v47, v46
	v_add_f16_e32 v105, v40, v47
	v_add_f16_e32 v108, v55, v120
	;; [unrolled: 1-line block ×6, first 2 shown]
	v_mul_f16_sdwa v143, v111, v20 dst_sel:DWORD dst_unused:UNUSED_PAD src0_sel:DWORD src1_sel:WORD_1
	v_mul_f16_sdwa v145, v112, v21 dst_sel:DWORD dst_unused:UNUSED_PAD src0_sel:DWORD src1_sel:WORD_1
	;; [unrolled: 1-line block ×3, first 2 shown]
	v_fmac_f16_e32 v134, v106, v35
	v_fmac_f16_e32 v136, v107, v24
	v_fma_f16 v94, v94, v25, -v137
	v_fma_f16 v93, v93, v26, -v139
	v_fmac_f16_e32 v142, v110, v27
	v_fmac_f16_e32 v144, v111, v20
	;; [unrolled: 1-line block ×3, first 2 shown]
	v_fma_f16 v97, v97, v23, -v149
	v_fmac_f16_e32 v150, v114, v23
	v_fma_f16 v62, v99, v16, -v151
	v_fmac_f16_e32 v58, v117, v18
	v_sub_f16_e32 v99, v120, v126
	v_sub_f16_e32 v106, v43, v40
	;; [unrolled: 1-line block ×8, first 2 shown]
	v_add_f16_e32 v117, v44, v92
	v_sub_f16_e32 v120, v88, v44
	v_sub_f16_e32 v121, v48, v92
	v_add_f16_e32 v123, v88, v48
	v_add_f16_e32 v129, v54, v128
	v_sub_f16_e32 v149, v138, v140
	v_add_f16_e32 v45, v45, v43
	v_fma_f16 v158, -0.5, v49, v50
	v_add_f16_e32 v49, v103, v104
	v_fma_f16 v103, -0.5, v105, v50
	;; [unrolled: 2-line block ×3, first 2 shown]
	v_fmac_f16_e32 v55, -0.5, v113
	v_add_f16_e32 v108, v116, v44
	v_fma_f16 v43, -0.5, v153, v41
	v_fma_f16 v95, v95, v21, -v145
	v_fma_f16 v100, v100, v22, -v147
	v_sub_f16_e32 v101, v122, v124
	v_sub_f16_e32 v127, v92, v48
	;; [unrolled: 1-line block ×3, first 2 shown]
	v_add_f16_e32 v145, v94, v93
	v_sub_f16_e32 v147, v136, v142
	v_sub_f16_e32 v154, v94, v102
	;; [unrolled: 1-line block ×3, first 2 shown]
	v_add_f16_e32 v156, v89, v136
	v_add_f16_e32 v157, v138, v140
	;; [unrolled: 1-line block ×4, first 2 shown]
	v_fma_f16 v109, -0.5, v117, v51
	v_add_f16_e32 v111, v120, v121
	v_fmac_f16_e32 v51, -0.5, v123
	v_add_f16_e32 v113, v129, v130
	v_add_f16_e32 v45, v45, v46
	v_fmamk_f16 v121, v99, 0x3b9c, v158
	v_fmac_f16_e32 v158, 0xbb9c, v99
	v_add_f16_e32 v46, v104, v124
	v_fmamk_f16 v104, v40, 0xbb9c, v105
	v_fmac_f16_e32 v105, 0x3b9c, v40
	v_fmamk_f16 v123, v110, 0x3b9c, v55
	v_fmac_f16_e32 v55, 0xbb9c, v110
	v_add_f16_e32 v92, v108, v92
	v_fmamk_f16 v129, v149, 0xbb9c, v43
	v_fmac_f16_e32 v43, 0x3b9c, v149
	v_fma_f16 v98, v98, v20, -v143
	v_fmac_f16_e32 v59, v118, v19
	v_sub_f16_e32 v118, v128, v134
	v_sub_f16_e32 v119, v130, v132
	;; [unrolled: 1-line block ×3, first 2 shown]
	v_add_f16_e32 v131, v130, v132
	v_sub_f16_e32 v135, v128, v130
	v_add_f16_e32 v139, v128, v134
	v_sub_f16_e32 v128, v130, v128
	v_add_f16_e32 v143, v41, v102
	v_fma_f16 v44, -0.5, v145, v41
	v_add_f16_e32 v41, v154, v155
	v_fmamk_f16 v122, v101, 0xbb9c, v103
	v_fmac_f16_e32 v103, 0x3b9c, v101
	v_add_f16_e32 v130, v45, v47
	v_fmac_f16_e32 v121, 0x38b4, v101
	v_fmac_f16_e32 v158, 0xb8b4, v101
	v_add_f16_e32 v101, v46, v126
	v_fmac_f16_e32 v104, 0xb8b4, v110
	v_fmac_f16_e32 v105, 0x38b4, v110
	;; [unrolled: 1-line block ×4, first 2 shown]
	v_add_f16_e32 v110, v92, v48
	v_fmac_f16_e32 v129, 0x38b4, v147
	v_add_f16_e32 v40, v156, v138
	v_fma_f16 v92, -0.5, v157, v89
	v_sub_f16_e32 v45, v102, v96
	v_fmac_f16_e32 v43, 0xb8b4, v147
	v_add_f16_e32 v46, v136, v142
	v_fmac_f16_e32 v56, v115, v16
	v_sub_f16_e32 v115, v124, v126
	v_sub_f16_e32 v88, v88, v48
	;; [unrolled: 1-line block ×3, first 2 shown]
	v_fmac_f16_e32 v121, 0x34f2, v49
	v_fmac_f16_e32 v158, 0x34f2, v49
	;; [unrolled: 1-line block ×3, first 2 shown]
	v_add_f16_e32 v40, v40, v140
	v_fmamk_f16 v102, v45, 0xbb9c, v92
	v_sub_f16_e32 v48, v94, v93
	v_sub_f16_e32 v47, v136, v138
	;; [unrolled: 1-line block ×3, first 2 shown]
	v_fmac_f16_e32 v43, 0x34f2, v41
	v_fmac_f16_e32 v89, -0.5, v46
	v_fmac_f16_e32 v92, 0x3b9c, v45
	v_sub_f16_e32 v41, v138, v136
	v_sub_f16_e32 v46, v140, v142
	v_add_f16_e32 v107, v114, v115
	v_fmac_f16_e32 v104, 0x34f2, v106
	v_fmac_f16_e32 v105, 0x34f2, v106
	v_add_f16_e32 v106, v40, v142
	v_fmac_f16_e32 v102, 0xb8b4, v48
	v_add_f16_e32 v40, v47, v49
	;; [unrolled: 2-line block ×3, first 2 shown]
	v_add_f16_e32 v46, v42, v98
	v_add_f16_e32 v47, v95, v100
	v_fma_f16 v114, -0.5, v131, v54
	v_fmac_f16_e32 v54, -0.5, v139
	v_add_f16_e32 v117, v143, v94
	v_fmac_f16_e32 v122, 0x38b4, v99
	v_fmac_f16_e32 v103, 0xb8b4, v99
	;; [unrolled: 1-line block ×4, first 2 shown]
	v_fmamk_f16 v107, v48, 0x3b9c, v89
	v_fmac_f16_e32 v102, 0x34f2, v40
	v_fmac_f16_e32 v92, 0x34f2, v40
	;; [unrolled: 1-line block ×3, first 2 shown]
	v_add_f16_e32 v40, v46, v95
	v_add_f16_e32 v94, v98, v97
	v_fma_f16 v47, -0.5, v47, v42
	v_sub_f16_e32 v49, v144, v150
	v_sub_f16_e32 v152, v96, v93
	v_add_f16_e32 v112, v125, v127
	v_fmamk_f16 v127, v133, 0x3b9c, v54
	v_fmac_f16_e32 v54, 0xbb9c, v133
	v_add_f16_e32 v117, v117, v93
	v_fmac_f16_e32 v122, 0x34f2, v50
	v_fmac_f16_e32 v103, 0x34f2, v50
	;; [unrolled: 1-line block ×3, first 2 shown]
	v_sub_f16_e32 v48, v146, v148
	v_sub_f16_e32 v50, v98, v95
	;; [unrolled: 1-line block ×3, first 2 shown]
	v_fmac_f16_e32 v89, 0x38b4, v45
	v_add_f16_e32 v40, v40, v100
	v_fmac_f16_e32 v42, -0.5, v94
	v_fmamk_f16 v46, v49, 0x3b9c, v47
	v_fmac_f16_e32 v47, 0xbb9c, v49
	v_add_f16_e32 v94, v91, v144
	v_fmamk_f16 v125, v88, 0xbb9c, v114
	v_fmac_f16_e32 v114, 0x3b9c, v88
	v_fmac_f16_e32 v127, 0xb8b4, v88
	;; [unrolled: 1-line block ×3, first 2 shown]
	v_add_f16_e32 v88, v117, v96
	v_fmac_f16_e32 v107, 0x34f2, v41
	v_add_f16_e32 v50, v50, v93
	v_fmac_f16_e32 v89, 0x34f2, v41
	v_add_f16_e32 v45, v40, v97
	v_fmamk_f16 v41, v48, 0xbb9c, v42
	v_sub_f16_e32 v40, v95, v98
	v_sub_f16_e32 v93, v100, v97
	v_add_f16_e32 v96, v146, v148
	v_fmac_f16_e32 v42, 0x3b9c, v48
	v_fmac_f16_e32 v46, 0x38b4, v48
	;; [unrolled: 1-line block ×3, first 2 shown]
	v_add_f16_e32 v48, v94, v146
	v_fmac_f16_e32 v41, 0x38b4, v49
	v_add_f16_e32 v40, v40, v93
	v_fma_f16 v93, -0.5, v96, v91
	v_sub_f16_e32 v97, v98, v97
	v_fmac_f16_e32 v42, 0xb8b4, v49
	v_add_f16_e32 v49, v144, v150
	v_fmac_f16_e32 v46, 0x34f2, v50
	v_fmac_f16_e32 v47, 0x34f2, v50
	v_add_f16_e32 v48, v48, v148
	v_sub_f16_e32 v50, v95, v100
	v_sub_f16_e32 v95, v144, v146
	;; [unrolled: 1-line block ×3, first 2 shown]
	v_fmamk_f16 v108, v118, 0x3b9c, v109
	v_fmac_f16_e32 v109, 0xbb9c, v118
	v_fmac_f16_e32 v41, 0x34f2, v40
	v_fmamk_f16 v94, v97, 0xbb9c, v93
	v_fmac_f16_e32 v42, 0x34f2, v40
	v_fmac_f16_e32 v91, -0.5, v49
	v_fmac_f16_e32 v93, 0x3b9c, v97
	v_sub_f16_e32 v40, v146, v144
	v_sub_f16_e32 v49, v148, v150
	v_add_f16_e32 v96, v48, v150
	v_add_f16_e32 v48, v95, v98
	;; [unrolled: 1-line block ×3, first 2 shown]
	v_fmamk_f16 v124, v119, 0xbb9c, v51
	v_fmac_f16_e32 v51, 0x3b9c, v119
	v_fmac_f16_e32 v108, 0x38b4, v119
	;; [unrolled: 1-line block ×4, first 2 shown]
	v_fmamk_f16 v95, v50, 0x3b9c, v91
	v_fmac_f16_e32 v93, 0x38b4, v50
	v_add_f16_e32 v99, v40, v49
	v_fmac_f16_e32 v91, 0xbb9c, v50
	v_add_f16_e32 v49, v39, v62
	v_fma_f16 v40, -0.5, v98, v39
	v_sub_f16_e32 v98, v56, v59
	v_fmac_f16_e32 v124, 0x38b4, v118
	v_fmac_f16_e32 v51, 0xb8b4, v118
	;; [unrolled: 1-line block ×8, first 2 shown]
	v_add_f16_e32 v48, v49, v60
	v_add_f16_e32 v111, v62, v80
	v_fmamk_f16 v49, v98, 0x3b9c, v40
	v_sub_f16_e32 v97, v57, v58
	v_sub_f16_e32 v50, v62, v60
	;; [unrolled: 1-line block ×3, first 2 shown]
	v_fmac_f16_e32 v40, 0xbb9c, v98
	v_fmac_f16_e32 v124, 0x34f2, v112
	;; [unrolled: 1-line block ×4, first 2 shown]
	v_add_f16_e32 v48, v48, v61
	v_fmac_f16_e32 v39, -0.5, v111
	v_fmac_f16_e32 v91, 0x34f2, v99
	v_add_f16_e32 v99, v90, v56
	v_sub_f16_e32 v111, v60, v62
	v_sub_f16_e32 v112, v61, v80
	v_fmac_f16_e32 v49, 0x38b4, v97
	v_add_f16_e32 v50, v50, v100
	v_fmac_f16_e32 v40, 0xb8b4, v97
	v_add_f16_e32 v48, v48, v80
	v_add_f16_e32 v100, v57, v58
	;; [unrolled: 1-line block ×3, first 2 shown]
	v_sub_f16_e32 v62, v62, v80
	v_add_f16_e32 v80, v111, v112
	v_add_f16_e32 v111, v56, v59
	v_fmac_f16_e32 v49, 0x34f2, v50
	v_fmac_f16_e32 v40, 0x34f2, v50
	v_fmamk_f16 v50, v97, 0xbb9c, v39
	v_fmac_f16_e32 v39, 0x3b9c, v97
	v_sub_f16_e32 v137, v134, v132
	v_sub_f16_e32 v141, v132, v134
	v_fma_f16 v97, -0.5, v100, v90
	v_add_f16_e32 v99, v99, v58
	v_sub_f16_e32 v60, v60, v61
	v_fmac_f16_e32 v90, -0.5, v111
	v_fmac_f16_e32 v50, 0x38b4, v98
	v_fmac_f16_e32 v39, 0xb8b4, v98
	v_add_f16_e32 v115, v135, v137
	v_add_f16_e32 v116, v128, v141
	v_fmamk_f16 v128, v147, 0x3b9c, v44
	v_fmac_f16_e32 v125, 0xb8b4, v133
	v_add_f16_e32 v100, v99, v59
	v_sub_f16_e32 v61, v56, v57
	v_fmamk_f16 v99, v60, 0x3b9c, v90
	v_sub_f16_e32 v56, v57, v56
	v_sub_f16_e32 v57, v58, v59
	v_fmac_f16_e32 v90, 0xbb9c, v60
	v_fmac_f16_e32 v114, 0x38b4, v133
	v_fmamk_f16 v98, v62, 0xbb9c, v97
	v_fmac_f16_e32 v50, 0x34f2, v80
	v_fmac_f16_e32 v39, 0x34f2, v80
	v_sub_f16_e32 v80, v59, v58
	v_fmac_f16_e32 v97, 0x3b9c, v62
	v_add_f16_e32 v113, v113, v132
	v_add_f16_e32 v120, v151, v152
	v_fmac_f16_e32 v128, 0x38b4, v149
	v_fmac_f16_e32 v125, 0x34f2, v115
	;; [unrolled: 1-line block ×3, first 2 shown]
	v_add_f16_e32 v56, v56, v57
	v_fmac_f16_e32 v90, 0x38b4, v62
	v_fmac_f16_e32 v44, 0xbb9c, v147
	;; [unrolled: 1-line block ×3, first 2 shown]
	v_pack_b32_f16 v57, v130, v101
	v_fmac_f16_e32 v54, 0x34f2, v116
	v_fmac_f16_e32 v114, 0x34f2, v115
	;; [unrolled: 1-line block ×3, first 2 shown]
	v_add_f16_e32 v58, v61, v80
	v_fmac_f16_e32 v97, 0x38b4, v60
	v_lshl_add_u32 v80, v75, 2, v79
	v_add_f16_e32 v113, v113, v134
	v_fmac_f16_e32 v128, 0x34f2, v120
	v_fmac_f16_e32 v99, 0x34f2, v56
	;; [unrolled: 1-line block ×3, first 2 shown]
	v_pack_b32_f16 v56, v121, v104
	v_pack_b32_f16 v60, v108, v125
	v_fmac_f16_e32 v44, 0xb8b4, v149
	ds_write_b32 v64, v57
	v_pack_b32_f16 v57, v122, v123
	v_pack_b32_f16 v61, v124, v127
	;; [unrolled: 1-line block ×4, first 2 shown]
	v_fmac_f16_e32 v98, 0x34f2, v58
	v_fmac_f16_e32 v97, 0x34f2, v58
	v_pack_b32_f16 v58, v158, v105
	v_pack_b32_f16 v54, v109, v114
	v_add_nc_u32_e32 v62, 0x400, v80
	v_pack_b32_f16 v59, v110, v113
	v_pack_b32_f16 v88, v88, v106
	ds_write2_b32 v80, v56, v60 offset0:65 offset1:78
	ds_write2_b32 v80, v57, v61 offset0:130 offset1:143
	;; [unrolled: 1-line block ×5, first 2 shown]
	v_pack_b32_f16 v51, v128, v102
	v_pack_b32_f16 v55, v46, v94
	v_fmac_f16_e32 v44, 0x34f2, v120
	v_pack_b32_f16 v54, v129, v107
	v_pack_b32_f16 v56, v41, v95
	;; [unrolled: 1-line block ×3, first 2 shown]
	ds_write2_b32 v80, v51, v55 offset0:91 offset1:104
	ds_write2_b32 v80, v54, v56 offset0:156 offset1:169
	v_pack_b32_f16 v51, v42, v91
	v_pack_b32_f16 v58, v44, v92
	;; [unrolled: 1-line block ×9, first 2 shown]
	v_add_nc_u32_e32 v61, 0x200, v64
	ds_write2_b32 v80, v57, v51 offset0:221 offset1:234
	ds_write2_b32 v62, v58, v54 offset0:30 offset1:43
	;; [unrolled: 1-line block ×5, first 2 shown]
	s_waitcnt lgkmcnt(0)
	s_barrier
	buffer_gl0_inv
	s_clause 0xc
	global_load_dword v51, v[36:37], off offset:1300
	global_load_dword v60, v52, s[0:1] offset:100
	global_load_dword v62, v52, s[0:1] offset:200
	;; [unrolled: 1-line block ×12, first 2 shown]
	ds_read2_b32 v[54:55], v64 offset1:25
	ds_read2_b32 v[56:57], v64 offset0:50 offset1:75
	ds_read2_b32 v[58:59], v64 offset0:100 offset1:125
	ds_read2_b32 v[101:102], v64 offset0:150 offset1:175
	ds_read2_b32 v[103:104], v64 offset0:200 offset1:225
	ds_read2_b32 v[105:106], v61 offset0:122 offset1:147
	ds_read_b32 v116, v64 offset:1200
	s_waitcnt lgkmcnt(6)
	v_lshrrev_b32_e32 v117, 16, v54
	v_lshrrev_b32_e32 v118, 16, v55
	s_waitcnt lgkmcnt(5)
	v_lshrrev_b32_e32 v119, 16, v56
	v_lshrrev_b32_e32 v120, 16, v57
	;; [unrolled: 3-line block ×6, first 2 shown]
	s_waitcnt lgkmcnt(0)
	v_lshrrev_b32_e32 v129, 16, v116
	s_waitcnt vmcnt(12)
	v_mul_f16_sdwa v130, v117, v51 dst_sel:DWORD dst_unused:UNUSED_PAD src0_sel:DWORD src1_sel:WORD_1
	v_mul_f16_sdwa v131, v54, v51 dst_sel:DWORD dst_unused:UNUSED_PAD src0_sel:DWORD src1_sel:WORD_1
	s_waitcnt vmcnt(11)
	v_mul_f16_sdwa v132, v118, v60 dst_sel:DWORD dst_unused:UNUSED_PAD src0_sel:DWORD src1_sel:WORD_1
	v_mul_f16_sdwa v133, v55, v60 dst_sel:DWORD dst_unused:UNUSED_PAD src0_sel:DWORD src1_sel:WORD_1
	;; [unrolled: 3-line block ×13, first 2 shown]
	v_fma_f16 v54, v54, v51, -v130
	v_fmac_f16_e32 v131, v117, v51
	v_fma_f16 v51, v55, v60, -v132
	v_fmac_f16_e32 v133, v118, v60
	;; [unrolled: 2-line block ×13, first 2 shown]
	v_pack_b32_f16 v54, v54, v131
	v_pack_b32_f16 v51, v51, v133
	;; [unrolled: 1-line block ×13, first 2 shown]
	ds_write2_b32 v64, v54, v51 offset1:25
	ds_write2_b32 v64, v55, v56 offset0:50 offset1:75
	ds_write2_b32 v64, v57, v58 offset0:100 offset1:125
	;; [unrolled: 1-line block ×5, first 2 shown]
	ds_write_b32 v64, v103 offset:1200
	s_and_saveexec_b32 s2, vcc_lo
	s_cbranch_execz .LBB0_9
; %bb.8:
	v_add_co_u32 v51, s0, s0, v52
	v_add_co_ci_u32_e64 v52, null, s1, 0, s0
	s_clause 0xc
	global_load_dword v54, v[51:52], off offset:52
	global_load_dword v60, v[51:52], off offset:152
	;; [unrolled: 1-line block ×13, first 2 shown]
	ds_read_b32 v51, v80 offset:52
	s_waitcnt lgkmcnt(0)
	v_lshrrev_b32_e32 v52, 16, v51
	s_waitcnt vmcnt(12)
	v_mul_f16_sdwa v55, v52, v54 dst_sel:DWORD dst_unused:UNUSED_PAD src0_sel:DWORD src1_sel:WORD_1
	v_mul_f16_sdwa v56, v51, v54 dst_sel:DWORD dst_unused:UNUSED_PAD src0_sel:DWORD src1_sel:WORD_1
	v_fma_f16 v51, v51, v54, -v55
	v_fmac_f16_e32 v56, v52, v54
	v_pack_b32_f16 v51, v51, v56
	ds_write_b32 v80, v51 offset:52
	ds_read2_b32 v[51:52], v64 offset0:38 offset1:63
	ds_read2_b32 v[54:55], v64 offset0:88 offset1:113
	;; [unrolled: 1-line block ×6, first 2 shown]
	s_waitcnt lgkmcnt(5)
	v_lshrrev_b32_e32 v114, 16, v51
	s_waitcnt vmcnt(11)
	v_mul_f16_sdwa v115, v51, v60 dst_sel:DWORD dst_unused:UNUSED_PAD src0_sel:DWORD src1_sel:WORD_1
	v_lshrrev_b32_e32 v116, 16, v52
	s_waitcnt vmcnt(10)
	v_mul_f16_sdwa v117, v52, v62 dst_sel:DWORD dst_unused:UNUSED_PAD src0_sel:DWORD src1_sel:WORD_1
	s_waitcnt lgkmcnt(4)
	v_lshrrev_b32_e32 v118, 16, v54
	s_waitcnt vmcnt(9)
	v_mul_f16_sdwa v119, v54, v88 dst_sel:DWORD dst_unused:UNUSED_PAD src0_sel:DWORD src1_sel:WORD_1
	v_lshrrev_b32_e32 v120, 16, v55
	s_waitcnt vmcnt(8)
	v_mul_f16_sdwa v121, v55, v105 dst_sel:DWORD dst_unused:UNUSED_PAD src0_sel:DWORD src1_sel:WORD_1
	;; [unrolled: 7-line block ×5, first 2 shown]
	s_waitcnt lgkmcnt(0)
	v_lshrrev_b32_e32 v134, 16, v103
	s_waitcnt vmcnt(1)
	v_mul_f16_sdwa v135, v103, v112 dst_sel:DWORD dst_unused:UNUSED_PAD src0_sel:DWORD src1_sel:WORD_1
	v_lshrrev_b32_e32 v136, 16, v104
	v_mul_f16_sdwa v138, v114, v60 dst_sel:DWORD dst_unused:UNUSED_PAD src0_sel:DWORD src1_sel:WORD_1
	v_fmac_f16_e32 v115, v114, v60
	v_mul_f16_sdwa v114, v116, v62 dst_sel:DWORD dst_unused:UNUSED_PAD src0_sel:DWORD src1_sel:WORD_1
	v_fmac_f16_e32 v117, v116, v62
	;; [unrolled: 2-line block ×9, first 2 shown]
	v_mul_f16_sdwa v130, v132, v111 dst_sel:DWORD dst_unused:UNUSED_PAD src0_sel:DWORD src1_sel:WORD_1
	s_waitcnt vmcnt(0)
	v_mul_f16_sdwa v137, v104, v113 dst_sel:DWORD dst_unused:UNUSED_PAD src0_sel:DWORD src1_sel:WORD_1
	v_fmac_f16_e32 v133, v132, v111
	v_mul_f16_sdwa v132, v134, v112 dst_sel:DWORD dst_unused:UNUSED_PAD src0_sel:DWORD src1_sel:WORD_1
	v_fmac_f16_e32 v135, v134, v112
	v_mul_f16_sdwa v134, v136, v113 dst_sel:DWORD dst_unused:UNUSED_PAD src0_sel:DWORD src1_sel:WORD_1
	v_fma_f16 v51, v51, v60, -v138
	v_fma_f16 v52, v52, v62, -v114
	;; [unrolled: 1-line block ×10, first 2 shown]
	v_fmac_f16_e32 v137, v136, v113
	v_fma_f16 v88, v103, v112, -v132
	v_fma_f16 v101, v104, v113, -v134
	v_pack_b32_f16 v51, v51, v115
	v_pack_b32_f16 v52, v52, v117
	;; [unrolled: 1-line block ×12, first 2 shown]
	ds_write2_b32 v64, v51, v52 offset0:38 offset1:63
	ds_write2_b32 v64, v54, v55 offset0:88 offset1:113
	;; [unrolled: 1-line block ×6, first 2 shown]
.LBB0_9:
	s_or_b32 exec_lo, exec_lo, s2
	s_waitcnt lgkmcnt(0)
	s_barrier
	buffer_gl0_inv
	ds_read2_b32 v[51:52], v64 offset1:25
	ds_read2_b32 v[59:60], v64 offset0:50 offset1:75
	ds_read2_b32 v[55:56], v64 offset0:100 offset1:125
	;; [unrolled: 1-line block ×5, first 2 shown]
	ds_read_b32 v104, v64 offset:1200
	s_and_saveexec_b32 s0, vcc_lo
	s_cbranch_execz .LBB0_11
; %bb.10:
	v_add_nc_u32_e32 v39, 0x400, v80
	ds_read2_b32 v[43:44], v80 offset0:13 offset1:38
	ds_read2_b32 v[45:46], v80 offset0:63 offset1:88
	;; [unrolled: 1-line block ×6, first 2 shown]
	ds_read_b32 v84, v80 offset:1252
	s_waitcnt lgkmcnt(6)
	v_lshrrev_b32_e32 v89, 16, v43
	v_lshrrev_b32_e32 v92, 16, v44
	s_waitcnt lgkmcnt(5)
	v_lshrrev_b32_e32 v96, 16, v45
	v_lshrrev_b32_e32 v94, 16, v46
	;; [unrolled: 3-line block ×6, first 2 shown]
	s_waitcnt lgkmcnt(0)
	v_lshrrev_b32_e32 v83, 16, v84
.LBB0_11:
	s_or_b32 exec_lo, exec_lo, s0
	s_waitcnt lgkmcnt(6)
	v_pk_add_f16 v101, v51, v52
	s_waitcnt lgkmcnt(0)
	v_pk_add_f16 v103, v104, v52
	v_pk_add_f16 v52, v52, v104 neg_lo:[0,1] neg_hi:[0,1]
	v_pk_add_f16 v128, v59, v62 neg_lo:[0,1] neg_hi:[0,1]
	v_mov_b32_e32 v106, 0x388b
	v_pk_add_f16 v101, v101, v59
	v_pk_add_f16 v131, v62, v59
	v_pk_mul_f16 v102, 0xb770, v52 op_sel_hi:[0,1]
	v_mov_b32_e32 v105, 0xba95
	v_mov_b32_e32 v110, 0xb5ac
	v_pk_add_f16 v101, v101, v60
	v_mul_f16_sdwa v114, v103, v106 dst_sel:DWORD dst_unused:UNUSED_PAD src0_sel:WORD_1 src1_sel:DWORD
	v_mov_b32_e32 v108, 0x2fb7
	v_mov_b32_e32 v109, 0xbb7b
	v_mul_f16_sdwa v113, v52, v105 dst_sel:DWORD dst_unused:UNUSED_PAD src0_sel:WORD_1 src1_sel:DWORD
	v_pk_add_f16 v101, v101, v55
	v_fmamk_f16 v121, v52, 0x3a95, v114
	v_mul_f16_sdwa v133, v131, v110 dst_sel:DWORD dst_unused:UNUSED_PAD src0_sel:WORD_1 src1_sel:DWORD
	v_mov_b32_e32 v107, 0xbbf1
	v_mul_f16_sdwa v116, v103, v108 dst_sel:DWORD dst_unused:UNUSED_PAD src0_sel:WORD_1 src1_sel:DWORD
	v_pk_add_f16 v101, v101, v56
	v_fmamk_f16 v120, v103, 0x388b, v113
	v_fma_f16 v113, v103, 0x388b, -v113
	v_fmac_f16_e32 v114, 0xba95, v52
	v_add_f16_sdwa v121, v51, v121 dst_sel:DWORD dst_unused:UNUSED_PAD src0_sel:WORD_1 src1_sel:DWORD
	v_pk_add_f16 v118, v101, v53
	v_pk_fma_f16 v101, 0x3b15, v103, v102 op_sel:[0,0,1] op_sel_hi:[0,1,0]
	v_pk_fma_f16 v102, 0x3b15, v103, v102 op_sel:[0,0,1] op_sel_hi:[0,1,0] neg_lo:[0,0,1] neg_hi:[0,0,1]
	v_mul_f16_sdwa v132, v128, v109 dst_sel:DWORD dst_unused:UNUSED_PAD src0_sel:WORD_1 src1_sel:DWORD
	v_fmamk_f16 v137, v128, 0x3b7b, v133
	v_pk_add_f16 v118, v118, v54
	v_mul_f16_sdwa v115, v52, v107 dst_sel:DWORD dst_unused:UNUSED_PAD src0_sel:WORD_1 src1_sel:DWORD
	v_bfi_b32 v126, 0xffff, v101, v102
	v_mul_f16_sdwa v117, v52, v109 dst_sel:DWORD dst_unused:UNUSED_PAD src0_sel:WORD_1 src1_sel:DWORD
	v_fmamk_f16 v123, v52, 0x3bf1, v116
	v_pk_add_f16 v118, v118, v57
	v_add_f16_e32 v120, v51, v120
	v_pk_add_f16 v126, v51, v126
	v_add_f16_e32 v113, v51, v113
	v_add_f16_sdwa v114, v51, v114 dst_sel:DWORD dst_unused:UNUSED_PAD src0_sel:WORD_1 src1_sel:DWORD
	v_pk_add_f16 v118, v118, v58
	v_fmamk_f16 v135, v131, 0xb5ac, v132
	v_mov_b32_e32 v136, 0xb3a8
	v_add_f16_e32 v121, v137, v121
	v_fma_f16 v132, v131, 0xb5ac, -v132
	v_pk_add_f16 v118, v118, v61
	v_fmac_f16_e32 v133, 0xbb7b, v128
	v_mov_b32_e32 v139, 0x394e
	v_mul_f16_sdwa v119, v103, v110 dst_sel:DWORD dst_unused:UNUSED_PAD src0_sel:WORD_1 src1_sel:DWORD
	v_fmamk_f16 v122, v103, 0x2fb7, v115
	v_pk_add_f16 v118, v118, v62
	v_pk_mul_f16 v62, 0xba95, v128 op_sel_hi:[0,1]
	v_fmamk_f16 v124, v103, 0xb5ac, v117
	v_add_f16_sdwa v123, v51, v123 dst_sel:DWORD dst_unused:UNUSED_PAD src0_sel:WORD_1 src1_sel:DWORD
	v_add_f16_e32 v120, v135, v120
	v_mul_f16_sdwa v135, v128, v136 dst_sel:DWORD dst_unused:UNUSED_PAD src0_sel:WORD_1 src1_sel:DWORD
	v_pk_fma_f16 v59, 0x388b, v131, v62 op_sel:[0,0,1] op_sel_hi:[0,1,0]
	v_pk_fma_f16 v62, 0x388b, v131, v62 op_sel:[0,0,1] op_sel_hi:[0,1,0] neg_lo:[0,0,1] neg_hi:[0,0,1]
	v_add_f16_e32 v113, v132, v113
	v_add_f16_e32 v114, v133, v114
	v_mul_f16_sdwa v133, v128, v139 dst_sel:DWORD dst_unused:UNUSED_PAD src0_sel:WORD_1 src1_sel:DWORD
	v_mov_b32_e32 v111, 0xb94e
	v_bfi_b32 v134, 0xffff, v59, v62
	v_mov_b32_e32 v112, 0xb9fd
	v_fma_f16 v115, v103, 0x2fb7, -v115
	v_fmamk_f16 v125, v52, 0x3b7b, v119
	v_fma_f16 v117, v103, 0xb5ac, -v117
	v_pk_add_f16 v126, v134, v126
	v_mov_b32_e32 v134, 0xbbc4
	v_add_f16_e32 v122, v51, v122
	v_pk_add_f16 v104, v118, v104
	v_add_f16_e32 v118, v51, v124
	v_fmamk_f16 v138, v131, 0xbbc4, v135
	v_mul_f16_sdwa v137, v131, v134 dst_sel:DWORD dst_unused:UNUSED_PAD src0_sel:WORD_1 src1_sel:DWORD
	v_fmac_f16_e32 v116, 0xbbf1, v52
	v_add_f16_e32 v115, v51, v115
	v_add_f16_sdwa v124, v51, v125 dst_sel:DWORD dst_unused:UNUSED_PAD src0_sel:WORD_1 src1_sel:DWORD
	v_mul_f16_sdwa v125, v52, v111 dst_sel:DWORD dst_unused:UNUSED_PAD src0_sel:WORD_1 src1_sel:DWORD
	v_fmamk_f16 v132, v128, 0x33a8, v137
	v_add_f16_e32 v117, v51, v117
	v_add_f16_e32 v122, v138, v122
	v_fma_f16 v135, v131, 0xbbc4, -v135
	v_mul_f16_sdwa v138, v131, v112 dst_sel:DWORD dst_unused:UNUSED_PAD src0_sel:WORD_1 src1_sel:DWORD
	v_add_f16_e32 v123, v132, v123
	v_fmamk_f16 v132, v131, 0xb9fd, v133
	v_mov_b32_e32 v140, 0x3bf1
	v_add_f16_sdwa v116, v51, v116 dst_sel:DWORD dst_unused:UNUSED_PAD src0_sel:WORD_1 src1_sel:DWORD
	v_mul_f16_sdwa v127, v103, v112 dst_sel:DWORD dst_unused:UNUSED_PAD src0_sel:WORD_1 src1_sel:DWORD
	v_fmac_f16_e32 v119, 0xbb7b, v52
	v_add_f16_e32 v118, v132, v118
	v_fma_f16 v132, v131, 0xb9fd, -v133
	v_fmamk_f16 v129, v103, 0xb9fd, v125
	v_fma_f16 v125, v103, 0xb9fd, -v125
	v_fmac_f16_e32 v137, 0xb3a8, v128
	v_add_f16_e32 v115, v135, v115
	v_fmamk_f16 v135, v128, 0xb94e, v138
	v_mul_f16_sdwa v133, v128, v140 dst_sel:DWORD dst_unused:UNUSED_PAD src0_sel:WORD_1 src1_sel:DWORD
	v_add_f16_e32 v117, v132, v117
	v_pk_add_f16 v132, v60, v61 neg_lo:[0,1] neg_hi:[0,1]
	v_fmamk_f16 v130, v52, 0x394e, v127
	v_add_f16_sdwa v119, v51, v119 dst_sel:DWORD dst_unused:UNUSED_PAD src0_sel:WORD_1 src1_sel:DWORD
	v_add_f16_e32 v129, v51, v129
	v_fmac_f16_e32 v127, 0xb94e, v52
	v_add_f16_e32 v125, v51, v125
	v_add_f16_e32 v116, v137, v116
	;; [unrolled: 1-line block ×3, first 2 shown]
	v_fmac_f16_e32 v138, 0x394e, v128
	v_mul_f16_sdwa v135, v131, v108 dst_sel:DWORD dst_unused:UNUSED_PAD src0_sel:WORD_1 src1_sel:DWORD
	v_fmamk_f16 v137, v131, 0x2fb7, v133
	v_pk_add_f16 v60, v61, v60
	v_pk_mul_f16 v61, 0xbbf1, v132 op_sel_hi:[0,1]
	v_fma_f16 v133, v131, 0x2fb7, -v133
	v_add_f16_sdwa v130, v51, v130 dst_sel:DWORD dst_unused:UNUSED_PAD src0_sel:WORD_1 src1_sel:DWORD
	v_add_f16_sdwa v127, v51, v127 dst_sel:DWORD dst_unused:UNUSED_PAD src0_sel:WORD_1 src1_sel:DWORD
	v_add_f16_e32 v119, v138, v119
	v_fmamk_f16 v138, v128, 0xbbf1, v135
	v_add_f16_e32 v129, v137, v129
	v_fmac_f16_e32 v135, 0x3bf1, v128
	v_pk_fma_f16 v137, 0x2fb7, v60, v61 op_sel:[0,0,1] op_sel_hi:[0,1,0]
	v_pk_fma_f16 v61, 0x2fb7, v60, v61 op_sel:[0,0,1] op_sel_hi:[0,1,0] neg_lo:[0,0,1] neg_hi:[0,0,1]
	v_add_f16_e32 v125, v133, v125
	v_mul_f16_sdwa v133, v132, v136 dst_sel:DWORD dst_unused:UNUSED_PAD src0_sel:WORD_1 src1_sel:DWORD
	v_mul_f16_sdwa v136, v60, v134 dst_sel:DWORD dst_unused:UNUSED_PAD src0_sel:WORD_1 src1_sel:DWORD
	v_add_f16_e32 v130, v138, v130
	v_add_f16_e32 v127, v135, v127
	v_bfi_b32 v135, 0xffff, v137, v61
	v_mov_b32_e32 v138, 0x3b7b
	v_fmamk_f16 v141, v60, 0xbbc4, v133
	v_fmamk_f16 v142, v132, 0x33a8, v136
	v_fma_f16 v133, v60, 0xbbc4, -v133
	v_pk_add_f16 v126, v135, v126
	v_mul_f16_sdwa v135, v132, v138 dst_sel:DWORD dst_unused:UNUSED_PAD src0_sel:WORD_1 src1_sel:DWORD
	v_add_f16_e32 v120, v141, v120
	v_add_f16_e32 v121, v142, v121
	v_fmac_f16_e32 v136, 0xb3a8, v132
	v_mul_f16_sdwa v141, v60, v110 dst_sel:DWORD dst_unused:UNUSED_PAD src0_sel:WORD_1 src1_sel:DWORD
	v_mov_b32_e32 v142, 0x3b15
	v_add_f16_e32 v113, v133, v113
	v_fmamk_f16 v133, v60, 0xb5ac, v135
	v_mov_b32_e32 v138, 0x3770
	v_add_f16_e32 v114, v136, v114
	v_fmamk_f16 v136, v132, 0xbb7b, v141
	v_mul_f16_sdwa v143, v60, v142 dst_sel:DWORD dst_unused:UNUSED_PAD src0_sel:WORD_1 src1_sel:DWORD
	v_add_f16_e32 v122, v133, v122
	v_mul_f16_sdwa v133, v132, v138 dst_sel:DWORD dst_unused:UNUSED_PAD src0_sel:WORD_1 src1_sel:DWORD
	v_fma_f16 v135, v60, 0xb5ac, -v135
	v_add_f16_e32 v123, v136, v123
	v_fmamk_f16 v136, v132, 0xb770, v143
	v_fmac_f16_e32 v141, 0x3b7b, v132
	v_fmamk_f16 v144, v60, 0x3b15, v133
	v_add_f16_e32 v115, v135, v115
	v_mul_f16_sdwa v135, v132, v105 dst_sel:DWORD dst_unused:UNUSED_PAD src0_sel:WORD_1 src1_sel:DWORD
	v_add_f16_e32 v124, v136, v124
	v_pk_add_f16 v136, v55, v58 neg_lo:[0,1] neg_hi:[0,1]
	v_add_f16_e32 v116, v141, v116
	v_add_f16_e32 v118, v144, v118
	v_fma_f16 v133, v60, 0x3b15, -v133
	v_fmamk_f16 v141, v60, 0x388b, v135
	v_mul_f16_sdwa v144, v60, v106 dst_sel:DWORD dst_unused:UNUSED_PAD src0_sel:WORD_1 src1_sel:DWORD
	v_pk_add_f16 v55, v58, v55
	v_pk_mul_f16 v58, 0xbb7b, v136 op_sel_hi:[0,1]
	v_fmac_f16_e32 v143, 0x3770, v132
	v_add_f16_e32 v117, v133, v117
	v_add_f16_e32 v129, v141, v129
	v_fmamk_f16 v133, v132, 0x3a95, v144
	v_pk_fma_f16 v141, 0xb5ac, v55, v58 op_sel:[0,0,1] op_sel_hi:[0,1,0]
	v_pk_fma_f16 v58, 0xb5ac, v55, v58 op_sel:[0,0,1] op_sel_hi:[0,1,0] neg_lo:[0,0,1] neg_hi:[0,0,1]
	v_mul_f16_sdwa v139, v136, v139 dst_sel:DWORD dst_unused:UNUSED_PAD src0_sel:WORD_1 src1_sel:DWORD
	v_fma_f16 v135, v60, 0x388b, -v135
	v_add_f16_e32 v119, v143, v119
	v_add_f16_e32 v130, v133, v130
	v_bfi_b32 v133, 0xffff, v141, v58
	v_fmamk_f16 v143, v55, 0xb9fd, v139
	v_add_f16_e32 v125, v135, v125
	v_mul_f16_sdwa v135, v55, v112 dst_sel:DWORD dst_unused:UNUSED_PAD src0_sel:WORD_1 src1_sel:DWORD
	v_fmac_f16_e32 v144, 0xba95, v132
	v_pk_add_f16 v126, v133, v126
	v_add_f16_e32 v120, v143, v120
	v_mul_f16_sdwa v133, v136, v138 dst_sel:DWORD dst_unused:UNUSED_PAD src0_sel:WORD_1 src1_sel:DWORD
	v_fmamk_f16 v143, v136, 0xb94e, v135
	v_fmac_f16_e32 v135, 0x394e, v136
	v_add_f16_e32 v127, v144, v127
	v_mul_f16_sdwa v144, v55, v142 dst_sel:DWORD dst_unused:UNUSED_PAD src0_sel:WORD_1 src1_sel:DWORD
	v_fma_f16 v139, v55, 0xb9fd, -v139
	v_fmamk_f16 v145, v55, 0x3b15, v133
	v_add_f16_e32 v114, v135, v114
	v_mul_f16_sdwa v107, v136, v107 dst_sel:DWORD dst_unused:UNUSED_PAD src0_sel:WORD_1 src1_sel:DWORD
	v_mul_f16_sdwa v135, v55, v108 dst_sel:DWORD dst_unused:UNUSED_PAD src0_sel:WORD_1 src1_sel:DWORD
	v_add_f16_e32 v121, v143, v121
	v_fmamk_f16 v143, v136, 0xb770, v144
	v_add_f16_e32 v113, v139, v113
	v_add_f16_e32 v122, v145, v122
	v_fmamk_f16 v139, v55, 0x2fb7, v107
	v_fmamk_f16 v145, v136, 0x3bf1, v135
	v_add_f16_e32 v123, v143, v123
	v_fma_f16 v133, v55, 0x3b15, -v133
	v_mov_b32_e32 v143, 0x33a8
	v_add_f16_e32 v118, v139, v118
	v_add_f16_e32 v124, v145, v124
	v_fma_f16 v107, v55, 0x2fb7, -v107
	v_pk_add_f16 v139, v56, v57 neg_lo:[0,1] neg_hi:[0,1]
	v_fmac_f16_e32 v135, 0xbbf1, v136
	v_mul_f16_sdwa v145, v55, v134 dst_sel:DWORD dst_unused:UNUSED_PAD src0_sel:WORD_1 src1_sel:DWORD
	v_fmac_f16_e32 v144, 0x3770, v136
	v_add_f16_e32 v115, v133, v115
	v_mul_f16_sdwa v133, v136, v143 dst_sel:DWORD dst_unused:UNUSED_PAD src0_sel:WORD_1 src1_sel:DWORD
	v_pk_add_f16 v56, v57, v56
	v_pk_mul_f16 v57, 0xb94e, v139 op_sel_hi:[0,1]
	v_add_f16_e32 v107, v107, v117
	v_add_f16_e32 v117, v135, v119
	v_fmamk_f16 v119, v136, 0xb3a8, v145
	v_add_f16_e32 v116, v144, v116
	v_fmamk_f16 v144, v55, 0xbbc4, v133
	v_pk_fma_f16 v135, 0xb9fd, v56, v57 op_sel:[0,0,1] op_sel_hi:[0,1,0]
	v_pk_fma_f16 v57, 0xb9fd, v56, v57 op_sel:[0,0,1] op_sel_hi:[0,1,0] neg_lo:[0,0,1] neg_hi:[0,0,1]
	v_fma_f16 v133, v55, 0xbbc4, -v133
	v_add_f16_e32 v119, v119, v130
	v_mul_f16_sdwa v130, v139, v140 dst_sel:DWORD dst_unused:UNUSED_PAD src0_sel:WORD_1 src1_sel:DWORD
	v_mul_f16_sdwa v108, v56, v108 dst_sel:DWORD dst_unused:UNUSED_PAD src0_sel:WORD_1 src1_sel:DWORD
	v_bfi_b32 v140, 0xffff, v135, v57
	v_add_f16_e32 v125, v133, v125
	v_mul_f16_sdwa v105, v139, v105 dst_sel:DWORD dst_unused:UNUSED_PAD src0_sel:WORD_1 src1_sel:DWORD
	v_fmamk_f16 v133, v56, 0x2fb7, v130
	v_fma_f16 v130, v56, 0x2fb7, -v130
	v_pk_add_f16 v126, v140, v126
	v_fmamk_f16 v140, v139, 0xbbf1, v108
	v_fmac_f16_e32 v108, 0x3bf1, v139
	v_add_f16_e32 v120, v133, v120
	v_fmamk_f16 v133, v56, 0x388b, v105
	v_add_f16_e32 v113, v130, v113
	v_mul_f16_sdwa v130, v56, v106 dst_sel:DWORD dst_unused:UNUSED_PAD src0_sel:WORD_1 src1_sel:DWORD
	v_add_f16_e32 v108, v108, v114
	v_add_f16_e32 v121, v140, v121
	;; [unrolled: 1-line block ×3, first 2 shown]
	v_mul_f16_sdwa v122, v139, v143 dst_sel:DWORD dst_unused:UNUSED_PAD src0_sel:WORD_1 src1_sel:DWORD
	v_mul_f16_sdwa v133, v56, v134 dst_sel:DWORD dst_unused:UNUSED_PAD src0_sel:WORD_1 src1_sel:DWORD
	v_fmamk_f16 v134, v139, 0x3a95, v130
	v_fma_f16 v105, v56, 0x388b, -v105
	v_fmac_f16_e32 v130, 0xba95, v139
	v_fmamk_f16 v140, v56, 0xbbc4, v122
	v_fmamk_f16 v143, v139, 0xb3a8, v133
	v_add_f16_e32 v123, v134, v123
	v_add_f16_e32 v105, v105, v115
	;; [unrolled: 1-line block ×5, first 2 shown]
	v_mul_f16_sdwa v124, v139, v138 dst_sel:DWORD dst_unused:UNUSED_PAD src0_sel:WORD_1 src1_sel:DWORD
	v_pk_add_f16 v134, v53, v54 neg_lo:[0,1] neg_hi:[0,1]
	v_fmac_f16_e32 v133, 0x33a8, v139
	v_pk_add_f16 v53, v54, v53
	v_fmac_f16_e32 v145, 0x33a8, v136
	v_mul_f16_sdwa v130, v56, v142 dst_sel:DWORD dst_unused:UNUSED_PAD src0_sel:WORD_1 src1_sel:DWORD
	v_fmamk_f16 v140, v56, 0x3b15, v124
	v_add_f16_e32 v117, v133, v117
	v_mul_f16_sdwa v133, v134, v138 dst_sel:DWORD dst_unused:UNUSED_PAD src0_sel:WORD_1 src1_sel:DWORD
	v_fma_f16 v124, v56, 0x3b15, -v124
	v_mul_f16_sdwa v138, v53, v142 dst_sel:DWORD dst_unused:UNUSED_PAD src0_sel:WORD_1 src1_sel:DWORD
	v_add_f16_e32 v129, v144, v129
	v_add_f16_e32 v127, v145, v127
	v_fma_f16 v122, v56, 0xbbc4, -v122
	v_fmamk_f16 v143, v139, 0xb770, v130
	v_pk_mul_f16 v54, 0xb3a8, v134 op_sel_hi:[0,1]
	v_fmac_f16_e32 v130, 0x3770, v139
	v_add_f16_e32 v124, v124, v125
	v_fmamk_f16 v125, v134, 0xb770, v138
	v_add_f16_e32 v107, v122, v107
	v_add_f16_e32 v122, v140, v129
	v_pk_fma_f16 v129, 0xbbc4, v53, v54 op_sel:[0,0,1] op_sel_hi:[0,1,0]
	v_pk_fma_f16 v54, 0xbbc4, v53, v54 op_sel:[0,0,1] op_sel_hi:[0,1,0] neg_lo:[0,0,1] neg_hi:[0,0,1]
	v_add_f16_e32 v127, v130, v127
	v_mul_f16_sdwa v111, v134, v111 dst_sel:DWORD dst_unused:UNUSED_PAD src0_sel:WORD_1 src1_sel:DWORD
	v_add_f16_e32 v121, v125, v121
	v_fma_f16 v125, v53, 0x3b15, -v133
	v_mov_b32_e32 v130, 0x3a95
	v_mul_f16_sdwa v112, v53, v112 dst_sel:DWORD dst_unused:UNUSED_PAD src0_sel:WORD_1 src1_sel:DWORD
	v_bfi_b32 v140, 0xffff, v129, v54
	v_fmamk_f16 v142, v53, 0x3b15, v133
	v_fmamk_f16 v133, v53, 0xb9fd, v111
	v_add_f16_e32 v113, v125, v113
	v_mul_f16_sdwa v125, v134, v130 dst_sel:DWORD dst_unused:UNUSED_PAD src0_sel:WORD_1 src1_sel:DWORD
	v_fmamk_f16 v130, v134, 0x394e, v112
	v_fma_f16 v111, v53, 0xb9fd, -v111
	v_fmac_f16_e32 v112, 0xb94e, v134
	v_mul_f16_sdwa v106, v53, v106 dst_sel:DWORD dst_unused:UNUSED_PAD src0_sel:WORD_1 src1_sel:DWORD
	v_pk_add_f16 v126, v140, v126
	v_add_f16_e32 v114, v133, v114
	v_fmamk_f16 v133, v53, 0x388b, v125
	v_add_f16_e32 v105, v111, v105
	v_add_f16_e32 v111, v112, v115
	v_fmamk_f16 v115, v134, 0xba95, v106
	v_fmac_f16_e32 v106, 0x3a95, v134
	v_mul_f16_sdwa v110, v53, v110 dst_sel:DWORD dst_unused:UNUSED_PAD src0_sel:WORD_1 src1_sel:DWORD
	v_pk_mul_f16 v103, 0xbbc4, v103 op_sel_hi:[0,1]
	s_barrier
	buffer_gl0_inv
	v_add_f16_e32 v119, v143, v119
	v_add_f16_e32 v112, v133, v116
	v_fma_f16 v116, v53, 0x388b, -v125
	v_mul_f16_sdwa v109, v134, v109 dst_sel:DWORD dst_unused:UNUSED_PAD src0_sel:WORD_1 src1_sel:DWORD
	v_add_f16_e32 v115, v115, v118
	v_add_f16_e32 v106, v106, v117
	v_fmamk_f16 v117, v134, 0x3b7b, v110
	v_pk_fma_f16 v118, 0xb3a8, v52, v103 op_sel:[0,0,1] op_sel_hi:[0,1,0]
	ds_write2_b32 v82, v104, v126 offset1:1
	v_pk_mul_f16 v104, 0x3b15, v131 op_sel_hi:[0,1]
	v_add_f16_e32 v120, v142, v120
	v_add_f16_e32 v123, v130, v123
	;; [unrolled: 1-line block ×3, first 2 shown]
	v_fmamk_f16 v116, v53, 0xb5ac, v109
	v_add_f16_e32 v117, v117, v119
	v_alignbit_b32 v119, s0, v118, 16
	v_pk_fma_f16 v52, 0xb3a8, v52, v103 op_sel:[0,0,1] op_sel_hi:[0,1,0] neg_lo:[0,1,0] neg_hi:[0,1,0]
	v_pk_fma_f16 v103, 0x3770, v128, v104 op_sel:[0,0,1] op_sel_hi:[0,1,0]
	v_pk_mul_f16 v60, 0xb9fd, v60 op_sel_hi:[0,1]
	v_pack_b32_f16 v120, v120, v121
	v_alignbit_b32 v121, s0, v51, 16
	v_add_f16_e32 v116, v116, v122
	v_pack_b32_f16 v114, v114, v123
	v_pk_add_f16 v119, v51, v119
	v_pk_add_f16 v52, v51, v52 op_sel:[1,0] op_sel_hi:[0,1]
	v_alignbit_b32 v122, s0, v103, 16
	v_pk_fma_f16 v104, 0x3770, v128, v104 op_sel:[0,0,1] op_sel_hi:[0,1,0] neg_lo:[0,1,0] neg_hi:[0,1,0]
	v_pk_fma_f16 v123, 0xb94e, v132, v60 op_sel:[0,0,1] op_sel_hi:[0,1,0]
	v_pk_mul_f16 v55, 0x388b, v55 op_sel_hi:[0,1]
	v_pk_add_f16 v118, v121, v118
	v_pk_add_f16 v119, v122, v119
	;; [unrolled: 1-line block ×3, first 2 shown]
	v_alignbit_b32 v104, s0, v123, 16
	v_pk_fma_f16 v60, 0xb94e, v132, v60 op_sel:[0,0,1] op_sel_hi:[0,1,0] neg_lo:[0,1,0] neg_hi:[0,1,0]
	v_pk_fma_f16 v121, 0x3a95, v136, v55 op_sel:[0,0,1] op_sel_hi:[0,1,0]
	v_pk_mul_f16 v56, 0xb5ac, v56 op_sel_hi:[0,1]
	v_pk_add_f16 v103, v103, v118
	v_bfi_b32 v101, 0xffff, v102, v101
	v_pk_add_f16 v104, v104, v119
	v_pk_add_f16 v52, v60, v52
	v_alignbit_b32 v60, s0, v121, 16
	v_pk_fma_f16 v55, 0x3a95, v136, v55 op_sel:[0,0,1] op_sel_hi:[0,1,0] neg_lo:[0,1,0] neg_hi:[0,1,0]
	v_pk_fma_f16 v118, 0xbb7b, v139, v56 op_sel:[0,0,1] op_sel_hi:[0,1,0]
	v_pk_add_f16 v103, v123, v103
	v_pk_add_f16 v51, v51, v101
	v_bfi_b32 v59, 0xffff, v62, v59
	v_fma_f16 v109, v53, 0xb5ac, -v109
	v_pk_add_f16 v60, v60, v104
	v_pk_add_f16 v52, v55, v52
	v_alignbit_b32 v55, s0, v118, 16
	v_pk_mul_f16 v53, 0x2fb7, v53 op_sel_hi:[0,1]
	v_pk_add_f16 v62, v121, v103
	v_pk_fma_f16 v56, 0xbb7b, v139, v56 op_sel:[0,0,1] op_sel_hi:[0,1,0] neg_lo:[0,1,0] neg_hi:[0,1,0]
	v_pk_add_f16 v51, v59, v51
	v_bfi_b32 v59, 0xffff, v61, v137
	v_pk_add_f16 v55, v55, v60
	v_pk_fma_f16 v60, 0x3bf1, v134, v53 op_sel:[0,0,1] op_sel_hi:[0,1,0]
	v_pk_add_f16 v52, v56, v52
	v_pk_add_f16 v56, v118, v62
	v_pk_fma_f16 v53, 0x3bf1, v134, v53 op_sel:[0,0,1] op_sel_hi:[0,1,0] neg_lo:[0,1,0] neg_hi:[0,1,0]
	v_pk_add_f16 v51, v59, v51
	v_bfi_b32 v58, 0xffff, v58, v141
	v_alignbit_b32 v61, s0, v60, 16
	v_fmac_f16_e32 v110, 0xbb7b, v134
	v_fmac_f16_e32 v138, 0x3770, v134
	v_pk_add_f16 v52, v53, v52
	v_pk_add_f16 v53, v60, v56
	v_pk_add_f16 v51, v58, v51
	v_bfi_b32 v56, 0xffff, v57, v135
	v_pk_add_f16 v55, v61, v55
	v_add_f16_e32 v109, v109, v124
	v_add_f16_e32 v110, v110, v127
	;; [unrolled: 1-line block ×3, first 2 shown]
	v_pk_add_f16 v51, v56, v51
	v_bfi_b32 v54, 0xffff, v54, v129
	v_add_nc_u32_e32 v88, 0xd0, v64
	v_pack_b32_f16 v57, v116, v117
	v_pack_b32_f16 v58, v112, v115
	v_alignbit_b32 v53, v53, v52, 16
	v_pack_b32_f16 v52, v55, v52
	v_pack_b32_f16 v55, v107, v106
	;; [unrolled: 1-line block ×5, first 2 shown]
	v_pk_add_f16 v51, v54, v51
	ds_write2_b32 v82, v120, v114 offset0:2 offset1:3
	ds_write2_b32 v82, v58, v57 offset0:4 offset1:5
	;; [unrolled: 1-line block ×5, first 2 shown]
	ds_write_b32 v82, v51 offset:48
	s_and_saveexec_b32 s0, vcc_lo
	s_cbranch_execz .LBB0_13
; %bb.12:
	v_add_f16_e32 v104, v83, v92
	v_sub_f16_e32 v55, v44, v84
	v_add_f16_e32 v105, v97, v96
	v_sub_f16_e32 v52, v45, v40
	v_add_f16_e32 v106, v90, v94
	v_mul_f16_e32 v107, 0xbbc4, v104
	v_sub_f16_e32 v53, v46, v39
	v_mul_f16_e32 v109, 0x3b15, v105
	v_add_f16_e32 v108, v99, v95
	v_mul_f16_e32 v111, 0xb9fd, v106
	v_fmamk_f16 v56, v55, 0x33a8, v107
	v_sub_f16_e32 v112, v92, v83
	v_fmamk_f16 v57, v52, 0xb770, v109
	v_sub_f16_e32 v51, v41, v50
	v_mul_f16_e32 v113, 0x388b, v108
	v_add_f16_e32 v58, v89, v56
	v_add_f16_e32 v56, v84, v44
	v_fmamk_f16 v59, v53, 0x394e, v111
	v_mul_f16_e32 v114, 0xb3a8, v112
	v_sub_f16_e32 v115, v96, v97
	v_add_f16_e32 v58, v57, v58
	v_add_f16_e32 v57, v40, v45
	v_fmamk_f16 v60, v51, 0xba95, v113
	v_sub_f16_e32 v117, v94, v90
	v_mul_f16_e32 v116, 0x3770, v115
	v_add_f16_e32 v58, v59, v58
	v_fmamk_f16 v59, v56, 0xbbc4, v114
	v_sub_f16_e32 v120, v95, v99
	v_mul_f16_e32 v119, 0xb94e, v117
	v_fmamk_f16 v61, v57, 0x3b15, v116
	v_add_f16_e32 v60, v60, v58
	v_add_f16_e32 v59, v43, v59
	;; [unrolled: 1-line block ×4, first 2 shown]
	v_mul_f16_e32 v122, 0x3a95, v120
	v_sub_f16_e32 v124, v91, v98
	v_add_f16_e32 v62, v61, v59
	v_fmamk_f16 v101, v58, 0xb9fd, v119
	v_add_f16_e32 v61, v50, v41
	v_sub_f16_e32 v54, v42, v49
	v_mul_f16_e32 v118, 0xb5ac, v110
	v_add_f16_e32 v121, v100, v93
	v_add_f16_e32 v101, v101, v62
	v_fmamk_f16 v102, v61, 0x388b, v122
	v_add_f16_e32 v62, v49, v42
	v_mul_f16_e32 v125, 0xbb7b, v124
	v_mul_f16_e32 v126, 0xb9fd, v104
	v_fmamk_f16 v82, v54, 0x3b7b, v118
	v_mul_f16_e32 v123, 0x2fb7, v121
	v_sub_f16_e32 v59, v47, v48
	v_add_f16_e32 v101, v102, v101
	v_fmamk_f16 v102, v62, 0xb5ac, v125
	v_fmamk_f16 v103, v55, 0x394e, v126
	v_mul_f16_e32 v127, 0x2fb7, v105
	v_add_f16_e32 v60, v82, v60
	v_fmamk_f16 v82, v59, 0xbbf1, v123
	v_add_f16_e32 v101, v102, v101
	v_sub_f16_e32 v128, v93, v100
	v_add_f16_e32 v102, v89, v103
	v_fmamk_f16 v103, v52, 0xbbf1, v127
	v_mul_f16_e32 v129, 0x388b, v106
	v_mul_f16_e32 v131, 0xb94e, v112
	v_add_f16_e32 v60, v82, v60
	v_add_f16_e32 v82, v48, v47
	v_mul_f16_e32 v130, 0x3bf1, v128
	v_add_f16_e32 v102, v103, v102
	v_fmamk_f16 v103, v53, 0x3a95, v129
	v_mul_f16_e32 v132, 0xbbc4, v108
	v_fmamk_f16 v134, v56, 0xb9fd, v131
	v_mul_f16_e32 v135, 0x3bf1, v115
	v_fmamk_f16 v133, v82, 0x2fb7, v130
	v_add_f16_e32 v102, v103, v102
	v_fmamk_f16 v103, v51, 0xb3a8, v132
	v_mul_f16_e32 v136, 0x3b15, v110
	v_add_f16_e32 v134, v43, v134
	v_fmamk_f16 v137, v57, 0x2fb7, v135
	v_mul_f16_e32 v138, 0xba95, v117
	v_add_f16_e32 v102, v103, v102
	v_fmamk_f16 v103, v54, 0xb770, v136
	v_add_f16_e32 v101, v133, v101
	v_add_f16_e32 v133, v137, v134
	v_fmamk_f16 v134, v58, 0x388b, v138
	v_mul_f16_e32 v137, 0x33a8, v120
	v_add_f16_e32 v102, v103, v102
	v_mul_f16_e32 v145, 0xbb7b, v112
	v_mul_f16_e32 v149, 0x394e, v115
	v_add_f16_e32 v103, v134, v133
	v_fmamk_f16 v133, v61, 0xbbc4, v137
	v_mul_f16_e32 v134, 0x3770, v124
	v_fmamk_f16 v148, v56, 0xb5ac, v145
	v_mul_f16_e32 v139, 0xb5ac, v121
	v_mul_f16_e32 v140, 0xb5ac, v104
	v_add_f16_e32 v103, v133, v103
	v_fmamk_f16 v133, v62, 0x3b15, v134
	v_add_f16_e32 v148, v43, v148
	v_fmamk_f16 v151, v57, 0xb9fd, v149
	v_mul_f16_e32 v152, 0x3770, v117
	v_fmamk_f16 v141, v59, 0x3b7b, v139
	v_add_f16_e32 v103, v133, v103
	v_mul_f16_e32 v133, 0xbb7b, v128
	v_fmamk_f16 v142, v55, 0x3b7b, v140
	v_mul_f16_e32 v143, 0xb9fd, v105
	v_add_f16_e32 v102, v141, v102
	v_mul_f16_e32 v144, 0x3b15, v106
	v_fmamk_f16 v147, v82, 0xb5ac, v133
	v_add_f16_e32 v141, v89, v142
	v_fmamk_f16 v142, v52, 0xb94e, v143
	v_mul_f16_e32 v154, 0x33a8, v124
	v_mul_f16_e32 v146, 0x2fb7, v108
	v_add_f16_e32 v103, v147, v103
	v_add_f16_e32 v147, v151, v148
	v_fmamk_f16 v148, v58, 0x3b15, v152
	v_mul_f16_e32 v151, 0xbbf1, v120
	v_add_f16_e32 v141, v142, v141
	v_fmamk_f16 v142, v53, 0xb770, v144
	v_mul_f16_e32 v159, 0xbbf1, v112
	;; [unrolled: 3-line block ×3, first 2 shown]
	v_add_f16_e32 v141, v142, v141
	v_fmamk_f16 v142, v51, 0x3bf1, v146
	v_fmamk_f16 v162, v56, 0x2fb7, v159
	v_add_f16_e32 v147, v148, v147
	v_fmamk_f16 v148, v62, 0xbbc4, v154
	v_mul_f16_e32 v163, 0xb3a8, v115
	v_add_f16_e32 v141, v142, v141
	v_fmamk_f16 v142, v54, 0xb3a8, v150
	v_add_f16_e32 v162, v43, v162
	v_add_f16_e32 v147, v148, v147
	v_mul_f16_e32 v148, 0x3a95, v128
	v_fmamk_f16 v165, v57, 0xbbc4, v163
	v_mul_f16_e32 v166, 0x3b7b, v117
	v_add_f16_e32 v141, v142, v141
	v_mul_f16_e32 v142, 0x388b, v121
	v_fmamk_f16 v161, v82, 0x388b, v148
	v_mul_f16_e32 v153, 0x2fb7, v104
	v_mul_f16_e32 v157, 0xbbc4, v105
	;; [unrolled: 1-line block ×3, first 2 shown]
	v_fmamk_f16 v155, v59, 0xba95, v142
	v_add_f16_e32 v147, v161, v147
	v_add_f16_e32 v161, v165, v162
	v_fmamk_f16 v162, v58, 0xb5ac, v166
	v_mul_f16_e32 v165, 0x3770, v120
	v_fmamk_f16 v156, v55, 0x3bf1, v153
	v_add_f16_e32 v141, v155, v141
	v_mul_f16_e32 v158, 0xb5ac, v106
	v_add_f16_e32 v161, v162, v161
	v_fmamk_f16 v162, v61, 0x3b15, v165
	v_add_f16_e32 v155, v89, v156
	v_fmamk_f16 v156, v52, 0x33a8, v157
	v_add_f16_e32 v44, v44, v43
	v_mul_f16_e32 v160, 0x3b15, v108
	v_add_f16_e32 v161, v162, v161
	v_fmamk_f16 v162, v62, 0x388b, v168
	v_add_f16_e32 v155, v156, v155
	v_fmamk_f16 v156, v53, 0xbb7b, v158
	v_add_f16_e32 v92, v92, v89
	v_add_f16_e32 v44, v45, v44
	;; [unrolled: 1-line block ×3, first 2 shown]
	v_mul_f16_e32 v162, 0xba95, v112
	v_add_f16_e32 v155, v156, v155
	v_fmamk_f16 v156, v51, 0xb770, v160
	v_mul_f16_e32 v164, 0x388b, v110
	v_mul_f16_e32 v176, 0xbb7b, v115
	v_fmamk_f16 v175, v56, 0x388b, v162
	v_add_f16_e32 v92, v96, v92
	v_add_f16_e32 v44, v46, v44
	;; [unrolled: 1-line block ×3, first 2 shown]
	v_fmamk_f16 v156, v54, 0x3a95, v164
	v_add_f16_e32 v175, v43, v175
	v_fmamk_f16 v178, v57, 0xb5ac, v176
	v_mul_f16_e32 v179, 0xb3a8, v117
	v_add_f16_e32 v92, v94, v92
	v_add_f16_e32 v41, v41, v44
	;; [unrolled: 1-line block ×3, first 2 shown]
	v_mul_f16_e32 v156, 0x388b, v104
	v_add_f16_e32 v175, v178, v175
	v_fmamk_f16 v178, v58, 0xbbc4, v179
	v_mul_f16_e32 v181, 0x394e, v120
	v_mul_f16_e32 v104, 0x3b15, v104
	;; [unrolled: 1-line block ×3, first 2 shown]
	v_add_f16_e32 v92, v95, v92
	v_add_f16_e32 v41, v42, v41
	v_fmamk_f16 v169, v55, 0x3a95, v156
	v_mul_f16_e32 v170, 0xb5ac, v105
	v_mul_f16_e32 v174, 0xb94e, v128
	v_add_f16_e32 v175, v178, v175
	v_fmamk_f16 v178, v61, 0xb9fd, v181
	v_mul_f16_e32 v182, 0x3bf1, v124
	v_fmamk_f16 v183, v55, 0x3770, v104
	v_mul_f16_e32 v105, 0x388b, v105
	;; [unrolled: 2-line block ×3, first 2 shown]
	v_add_f16_e32 v91, v91, v92
	v_add_f16_e32 v41, v47, v41
	;; [unrolled: 1-line block ×3, first 2 shown]
	v_fmamk_f16 v172, v52, 0x3b7b, v170
	v_mul_f16_e32 v173, 0xbbc4, v106
	v_fmamk_f16 v180, v82, 0xb9fd, v174
	v_add_f16_e32 v175, v178, v175
	v_fmamk_f16 v178, v62, 0x2fb7, v182
	v_add_f16_e32 v183, v89, v183
	v_fmamk_f16 v185, v52, 0x3a95, v105
	v_mul_f16_e32 v106, 0x2fb7, v106
	v_add_f16_e32 v94, v43, v94
	v_fmamk_f16 v42, v57, 0x388b, v44
	v_mul_f16_e32 v92, 0xbbf1, v117
	v_add_f16_e32 v47, v93, v91
	v_add_f16_e32 v41, v48, v41
	;; [unrolled: 1-line block ×3, first 2 shown]
	v_mul_f16_e32 v172, 0xb9fd, v108
	v_add_f16_e32 v161, v180, v161
	v_add_f16_e32 v175, v178, v175
	v_add_f16_e32 v178, v185, v183
	v_fmamk_f16 v180, v53, 0x3bf1, v106
	v_mul_f16_e32 v108, 0xb5ac, v108
	v_add_f16_e32 v42, v42, v94
	v_fmamk_f16 v91, v58, 0x2fb7, v92
	v_mul_f16_e32 v93, 0xbb7b, v120
	v_add_f16_e32 v47, v100, v47
	v_add_f16_e32 v41, v49, v41
	v_add_f16_e32 v45, v180, v178
	v_fmamk_f16 v96, v51, 0x3b7b, v108
	v_mul_f16_e32 v95, 0xb9fd, v110
	v_add_f16_e32 v42, v91, v42
	v_fmamk_f16 v48, v61, 0xb5ac, v93
	;; [unrolled: 8-line block ×3, first 2 shown]
	v_add_f16_e32 v47, v99, v47
	v_add_f16_e32 v39, v39, v41
	;; [unrolled: 1-line block ×3, first 2 shown]
	v_fmamk_f16 v94, v59, 0x33a8, v91
	v_add_f16_e32 v41, v48, v42
	v_add_f16_e32 v42, v90, v47
	;; [unrolled: 1-line block ×3, first 2 shown]
	v_fmac_f16_e32 v126, 0xb94e, v55
	v_add_f16_e32 v40, v94, v45
	v_fma_f16 v45, v56, 0xbbc4, -v114
	v_add_f16_e32 v42, v97, v42
	v_add_f16_e32 v39, v84, v39
	v_fma_f16 v84, v56, 0xb9fd, -v131
	v_fmac_f16_e32 v140, 0xbb7b, v55
	v_add_f16_e32 v45, v43, v45
	v_add_f16_e32 v42, v83, v42
	v_fma_f16 v48, v57, 0x3b15, -v116
	v_add_f16_e32 v83, v89, v126
	v_fmac_f16_e32 v127, 0x3bf1, v52
	v_add_f16_e32 v84, v43, v84
	v_fma_f16 v90, v57, 0x2fb7, -v135
	v_add_f16_e32 v94, v89, v140
	v_fmac_f16_e32 v143, 0x394e, v52
	;; [unrolled: 4-line block ×8, first 2 shown]
	v_mul_f16_e32 v167, 0xb9fd, v121
	v_add_f16_e32 v45, v48, v45
	v_fma_f16 v48, v82, 0x2fb7, -v130
	v_add_f16_e32 v83, v136, v83
	v_fmac_f16_e32 v139, 0xbb7b, v59
	v_add_f16_e32 v84, v90, v84
	v_fma_f16 v90, v82, 0xb5ac, -v133
	v_add_f16_e32 v94, v150, v94
	v_fmac_f16_e32 v142, 0x3a95, v59
	v_fmamk_f16 v171, v59, 0x394e, v167
	v_add_f16_e32 v45, v48, v45
	v_add_f16_e32 v48, v139, v83
	v_fma_f16 v83, v56, 0xb5ac, -v145
	v_add_f16_e32 v84, v90, v84
	v_add_f16_e32 v90, v142, v94
	v_fma_f16 v94, v56, 0x2fb7, -v159
	v_fmac_f16_e32 v156, 0xba95, v55
	v_add_f16_e32 v155, v171, v155
	v_fmamk_f16 v171, v53, 0x33a8, v173
	v_add_f16_e32 v83, v43, v83
	v_fma_f16 v96, v57, 0xb9fd, -v149
	v_add_f16_e32 v94, v43, v94
	v_fma_f16 v97, v57, 0xbbc4, -v163
	v_add_f16_e32 v98, v89, v156
	v_fmac_f16_e32 v170, 0xbb7b, v52
	v_add_f16_e32 v169, v171, v169
	v_fmamk_f16 v171, v51, 0xb94e, v172
	v_mul_f16_e32 v177, 0x2fb7, v110
	v_add_f16_e32 v83, v96, v83
	v_fma_f16 v96, v58, 0x3b15, -v152
	v_add_f16_e32 v94, v97, v94
	v_fma_f16 v97, v58, 0xb5ac, -v166
	v_add_f16_e32 v98, v170, v98
	v_fmac_f16_e32 v173, 0xb3a8, v53
	v_add_f16_e32 v169, v171, v169
	v_fmamk_f16 v171, v54, 0xbbf1, v177
	v_add_f16_e32 v83, v96, v83
	v_fma_f16 v96, v61, 0x2fb7, -v151
	v_add_f16_e32 v94, v97, v94
	v_fma_f16 v97, v61, 0x3b15, -v165
	v_add_f16_e32 v98, v173, v98
	v_fmac_f16_e32 v172, 0x394e, v51
	v_mul_f16_e32 v50, 0xb3a8, v128
	v_add_f16_e32 v169, v171, v169
	v_mul_f16_e32 v171, 0x3b15, v121
	v_add_f16_e32 v83, v96, v83
	v_fma_f16 v96, v62, 0xbbc4, -v154
	v_add_f16_e32 v94, v97, v94
	v_fma_f16 v97, v62, 0x388b, -v168
	v_add_f16_e32 v98, v172, v98
	v_fmac_f16_e32 v177, 0x3bf1, v54
	v_fmamk_f16 v47, v82, 0xbbc4, v50
	v_fmac_f16_e32 v107, 0xb3a8, v55
	v_fmamk_f16 v184, v59, 0xb770, v171
	v_add_f16_e32 v83, v96, v83
	v_fma_f16 v96, v82, 0x388b, -v148
	v_fmac_f16_e32 v153, 0xbbf1, v55
	v_add_f16_e32 v94, v97, v94
	v_fma_f16 v97, v82, 0xb9fd, -v174
	v_add_f16_e32 v98, v177, v98
	v_fmac_f16_e32 v171, 0x3770, v59
	v_fma_f16 v99, v56, 0x388b, -v162
	v_fmac_f16_e32 v104, 0xb770, v55
	v_fma_f16 v56, v56, 0x3b15, -v112
	v_add_f16_e32 v41, v47, v41
	v_add_f16_e32 v47, v89, v107
	v_fmac_f16_e32 v109, 0x3770, v52
	v_add_f16_e32 v83, v96, v83
	v_add_f16_e32 v96, v89, v153
	v_fmac_f16_e32 v157, 0xb3a8, v52
	v_add_f16_e32 v94, v97, v94
	v_add_f16_e32 v55, v171, v98
	v_add_f16_e32 v97, v43, v99
	v_fma_f16 v98, v57, 0xb5ac, -v176
	v_add_f16_e32 v89, v89, v104
	v_fmac_f16_e32 v105, 0xba95, v52
	v_add_f16_e32 v43, v43, v56
	v_fma_f16 v44, v57, 0x388b, -v44
	v_add_f16_e32 v47, v109, v47
	v_fmac_f16_e32 v111, 0xb94e, v53
	v_add_f16_e32 v96, v157, v96
	v_fmac_f16_e32 v158, 0x3b7b, v53
	v_add_f16_e32 v52, v98, v97
	v_fma_f16 v56, v58, 0xbbc4, -v179
	v_add_f16_e32 v57, v105, v89
	v_fmac_f16_e32 v106, 0xbbf1, v53
	v_add_f16_e32 v43, v44, v43
	v_fma_f16 v44, v58, 0x2fb7, -v92
	v_mul_f16_e32 v183, 0x3770, v128
	v_add_f16_e32 v47, v111, v47
	v_fmac_f16_e32 v113, 0x3a95, v51
	v_add_f16_e32 v96, v158, v96
	v_fmac_f16_e32 v160, 0x3770, v51
	v_add_f16_e32 v52, v56, v52
	v_fma_f16 v53, v61, 0xb9fd, -v181
	v_add_f16_e32 v56, v106, v57
	v_fmac_f16_e32 v108, 0xbb7b, v51
	v_add_f16_e32 v43, v44, v43
	v_fma_f16 v44, v61, 0xb5ac, -v93
	v_fmamk_f16 v46, v82, 0x3b15, v183
	v_add_f16_e32 v47, v113, v47
	v_fmac_f16_e32 v118, 0xbb7b, v54
	v_add_f16_e32 v96, v160, v96
	v_fmac_f16_e32 v164, 0xba95, v54
	v_add_f16_e32 v51, v53, v52
	v_fma_f16 v52, v62, 0x2fb7, -v182
	v_add_f16_e32 v53, v108, v56
	v_fmac_f16_e32 v95, 0xb94e, v54
	v_add_f16_e32 v43, v44, v43
	v_fma_f16 v44, v62, 0xb9fd, -v49
	v_add_f16_e32 v169, v184, v169
	v_add_f16_e32 v46, v46, v175
	;; [unrolled: 1-line block ×3, first 2 shown]
	v_fmac_f16_e32 v123, 0x3bf1, v59
	v_add_f16_e32 v96, v164, v96
	v_fmac_f16_e32 v167, 0xb94e, v59
	v_add_f16_e32 v49, v52, v51
	v_fma_f16 v51, v82, 0x3b15, -v183
	v_add_f16_e32 v52, v95, v53
	v_fmac_f16_e32 v91, 0xb3a8, v59
	v_add_f16_e32 v43, v44, v43
	v_fma_f16 v44, v82, 0xbbc4, -v50
	v_lshl_add_u32 v50, v81, 2, v79
	v_pack_b32_f16 v40, v41, v40
	v_pack_b32_f16 v39, v39, v42
	v_add_f16_e32 v47, v123, v47
	v_pack_b32_f16 v41, v161, v155
	v_pack_b32_f16 v42, v46, v169
	v_add_f16_e32 v96, v167, v96
	v_add_f16_e32 v46, v51, v49
	;; [unrolled: 1-line block ×4, first 2 shown]
	ds_write2_b32 v50, v39, v40 offset1:1
	ds_write2_b32 v50, v42, v41 offset0:2 offset1:3
	v_pack_b32_f16 v39, v103, v102
	v_pack_b32_f16 v40, v147, v141
	;; [unrolled: 1-line block ×9, first 2 shown]
	ds_write2_b32 v50, v40, v39 offset0:4 offset1:5
	ds_write2_b32 v50, v42, v41 offset0:6 offset1:7
	;; [unrolled: 1-line block ×4, first 2 shown]
	ds_write_b32 v50, v43 offset:48
.LBB0_13:
	s_or_b32 exec_lo, exec_lo, s0
	s_waitcnt lgkmcnt(0)
	s_barrier
	buffer_gl0_inv
	ds_read2_b32 v[41:42], v64 offset1:13
	ds_read2_b32 v[39:40], v64 offset0:52 offset1:65
	ds_read2_b32 v[51:52], v64 offset0:130 offset1:143
	;; [unrolled: 1-line block ×3, first 2 shown]
	v_add_nc_u32_e32 v45, 0x400, v64
	ds_read2_b32 v[55:56], v64 offset0:78 offset1:91
	ds_read2_b32 v[57:58], v64 offset0:208 offset1:221
	ds_read2_b32 v[59:60], v45 offset0:4 offset1:17
	ds_read2_b32 v[43:44], v64 offset0:26 offset1:39
	ds_read2_b32 v[61:62], v64 offset0:156 offset1:169
	ds_read2_b32 v[81:82], v45 offset0:30 offset1:43
	ds_read2_b32 v[83:84], v64 offset0:104 offset1:117
	ds_read2_b32 v[89:90], v64 offset0:234 offset1:247
	ds_read_b32 v79, v64 offset:1248
	s_waitcnt lgkmcnt(0)
	s_barrier
	buffer_gl0_inv
	s_mov_b32 s4, 0x7f9b2ce6
	s_mov_b32 s5, 0x3f6934c6
	s_mul_hi_u32 s3, s8, 25
	v_lshrrev_b32_e32 v94, 16, v55
	v_lshrrev_b32_e32 v96, 16, v57
	;; [unrolled: 1-line block ×7, first 2 shown]
	v_mul_f16_sdwa v107, v0, v91 dst_sel:DWORD dst_unused:UNUSED_PAD src0_sel:WORD_1 src1_sel:DWORD
	v_mul_f16_sdwa v112, v1, v92 dst_sel:DWORD dst_unused:UNUSED_PAD src0_sel:WORD_1 src1_sel:DWORD
	;; [unrolled: 1-line block ×5, first 2 shown]
	v_fmac_f16_e32 v107, v0, v40
	v_mul_f16_sdwa v40, v0, v40 dst_sel:DWORD dst_unused:UNUSED_PAD src0_sel:WORD_1 src1_sel:DWORD
	v_lshrrev_b32_e32 v98, 16, v60
	v_fmac_f16_e32 v112, v1, v51
	v_fma_f16 v51, v1, v92, -v113
	v_fmac_f16_e32 v114, v2, v54
	v_fma_f16 v40, v0, v91, -v40
	v_fma_f16 v54, v2, v93, -v115
	v_mul_f16_sdwa v91, v3, v97 dst_sel:DWORD dst_unused:UNUSED_PAD src0_sel:WORD_1 src1_sel:DWORD
	v_mul_f16_sdwa v92, v3, v59 dst_sel:DWORD dst_unused:UNUSED_PAD src0_sel:WORD_1 src1_sel:DWORD
	;; [unrolled: 1-line block ×5, first 2 shown]
	v_lshrrev_b32_e32 v99, 16, v56
	v_lshrrev_b32_e32 v100, 16, v61
	;; [unrolled: 1-line block ×3, first 2 shown]
	v_fmac_f16_e32 v91, v3, v59
	v_fma_f16 v59, v3, v97, -v92
	v_fmac_f16_e32 v93, v0, v55
	v_fma_f16 v55, v0, v94, -v113
	v_fmac_f16_e32 v115, v1, v52
	v_mul_f16_sdwa v0, v1, v52 dst_sel:DWORD dst_unused:UNUSED_PAD src0_sel:WORD_1 src1_sel:DWORD
	v_mul_f16_sdwa v52, v2, v96 dst_sel:DWORD dst_unused:UNUSED_PAD src0_sel:WORD_1 src1_sel:DWORD
	;; [unrolled: 1-line block ×5, first 2 shown]
	v_lshrrev_b32_e32 v102, 16, v81
	v_lshrrev_b32_e32 v103, 16, v83
	v_fma_f16 v95, v1, v95, -v0
	v_fmac_f16_e32 v52, v2, v57
	v_fma_f16 v57, v2, v96, -v92
	v_fmac_f16_e32 v94, v3, v60
	v_fma_f16 v60, v3, v98, -v97
	v_mul_f16_sdwa v92, v12, v99 dst_sel:DWORD dst_unused:UNUSED_PAD src0_sel:WORD_1 src1_sel:DWORD
	v_mul_f16_sdwa v0, v12, v56 dst_sel:DWORD dst_unused:UNUSED_PAD src0_sel:WORD_1 src1_sel:DWORD
	;; [unrolled: 1-line block ×5, first 2 shown]
	v_lshrrev_b32_e32 v104, 16, v62
	v_lshrrev_b32_e32 v105, 16, v89
	v_fmac_f16_e32 v92, v12, v56
	v_fma_f16 v12, v12, v99, -v0
	v_fmac_f16_e32 v96, v13, v61
	v_fma_f16 v13, v13, v100, -v1
	v_fmac_f16_e32 v97, v14, v58
	v_mul_f16_sdwa v0, v14, v58 dst_sel:DWORD dst_unused:UNUSED_PAD src0_sel:WORD_1 src1_sel:DWORD
	v_mul_f16_sdwa v56, v15, v102 dst_sel:DWORD dst_unused:UNUSED_PAD src0_sel:WORD_1 src1_sel:DWORD
	;; [unrolled: 1-line block ×4, first 2 shown]
	v_lshrrev_b32_e32 v106, 16, v82
	v_lshrrev_b32_e32 v108, 16, v84
	v_mul_f16_sdwa v2, v8, v83 dst_sel:DWORD dst_unused:UNUSED_PAD src0_sel:WORD_1 src1_sel:DWORD
	v_fma_f16 v14, v14, v101, -v0
	v_fmac_f16_e32 v56, v15, v81
	v_fma_f16 v15, v15, v102, -v1
	v_fmac_f16_e32 v58, v8, v83
	v_mul_f16_sdwa v81, v9, v104 dst_sel:DWORD dst_unused:UNUSED_PAD src0_sel:WORD_1 src1_sel:DWORD
	v_mul_f16_sdwa v0, v9, v62 dst_sel:DWORD dst_unused:UNUSED_PAD src0_sel:WORD_1 src1_sel:DWORD
	;; [unrolled: 1-line block ×4, first 2 shown]
	v_lshrrev_b32_e32 v109, 16, v53
	v_mul_f16_sdwa v98, v11, v106 dst_sel:DWORD dst_unused:UNUSED_PAD src0_sel:WORD_1 src1_sel:DWORD
	v_fmac_f16_e32 v81, v9, v62
	v_fma_f16 v62, v9, v104, -v0
	v_fmac_f16_e32 v83, v10, v89
	v_fma_f16 v89, v10, v105, -v1
	v_mul_f16_sdwa v0, v11, v82 dst_sel:DWORD dst_unused:UNUSED_PAD src0_sel:WORD_1 src1_sel:DWORD
	v_mul_f16_sdwa v9, v4, v108 dst_sel:DWORD dst_unused:UNUSED_PAD src0_sel:WORD_1 src1_sel:DWORD
	;; [unrolled: 1-line block ×3, first 2 shown]
	v_lshrrev_b32_e32 v110, 16, v90
	v_lshrrev_b32_e32 v111, 16, v79
	v_fma_f16 v61, v8, v103, -v2
	v_fmac_f16_e32 v98, v11, v82
	v_mul_f16_sdwa v8, v5, v109 dst_sel:DWORD dst_unused:UNUSED_PAD src0_sel:WORD_1 src1_sel:DWORD
	v_fma_f16 v82, v11, v106, -v0
	v_fmac_f16_e32 v9, v4, v84
	v_fma_f16 v1, v4, v108, -v1
	v_add_f16_e32 v0, v112, v114
	v_add_f16_e32 v4, v41, v107
	v_mul_f16_sdwa v2, v5, v53 dst_sel:DWORD dst_unused:UNUSED_PAD src0_sel:WORD_1 src1_sel:DWORD
	v_fmac_f16_e32 v8, v5, v53
	v_mul_f16_sdwa v10, v6, v110 dst_sel:DWORD dst_unused:UNUSED_PAD src0_sel:WORD_1 src1_sel:DWORD
	v_mul_f16_sdwa v3, v6, v90 dst_sel:DWORD dst_unused:UNUSED_PAD src0_sel:WORD_1 src1_sel:DWORD
	;; [unrolled: 1-line block ×3, first 2 shown]
	v_fma_f16 v0, -0.5, v0, v41
	v_sub_f16_e32 v84, v40, v59
	v_add_f16_e32 v4, v4, v112
	v_lshrrev_b32_e32 v50, 16, v41
	v_fma_f16 v2, v5, v109, -v2
	v_fmac_f16_e32 v10, v6, v90
	v_fma_f16 v5, v6, v110, -v3
	v_fmac_f16_e32 v53, v7, v79
	v_fmamk_f16 v3, v84, 0xbb9c, v0
	v_sub_f16_e32 v90, v51, v54
	v_sub_f16_e32 v6, v107, v112
	v_sub_f16_e32 v11, v91, v114
	v_add_f16_e32 v99, v107, v91
	v_mul_f16_sdwa v79, v7, v79 dst_sel:DWORD dst_unused:UNUSED_PAD src0_sel:WORD_1 src1_sel:DWORD
	v_add_f16_e32 v100, v4, v114
	v_fmac_f16_e32 v0, 0x3b9c, v84
	v_fmac_f16_e32 v3, 0xb8b4, v90
	v_add_f16_e32 v101, v6, v11
	v_fma_f16 v4, -0.5, v99, v41
	v_fma_f16 v11, v7, v111, -v79
	v_add_f16_e32 v6, v100, v91
	v_sub_f16_e32 v41, v112, v107
	v_sub_f16_e32 v79, v114, v91
	v_fmac_f16_e32 v0, 0x38b4, v90
	v_add_f16_e32 v99, v50, v40
	v_add_f16_e32 v100, v51, v54
	v_fmac_f16_e32 v3, 0x34f2, v101
	v_fmamk_f16 v7, v90, 0x3b9c, v4
	v_add_f16_e32 v41, v41, v79
	v_fmac_f16_e32 v4, 0xbb9c, v90
	v_add_f16_e32 v79, v99, v51
	v_fma_f16 v90, -0.5, v100, v50
	v_sub_f16_e32 v91, v107, v91
	v_fmac_f16_e32 v0, 0x34f2, v101
	v_add_f16_e32 v99, v40, v59
	v_sub_f16_e32 v101, v40, v51
	v_sub_f16_e32 v40, v51, v40
	;; [unrolled: 1-line block ×3, first 2 shown]
	v_fmac_f16_e32 v7, 0xb8b4, v84
	v_fmac_f16_e32 v4, 0x38b4, v84
	v_add_f16_e32 v79, v79, v54
	v_fmamk_f16 v84, v91, 0x3b9c, v90
	v_sub_f16_e32 v100, v112, v114
	v_sub_f16_e32 v102, v59, v54
	v_fmac_f16_e32 v50, -0.5, v99
	v_fmac_f16_e32 v90, 0xbb9c, v91
	v_add_f16_e32 v54, v115, v52
	v_add_f16_e32 v40, v40, v51
	;; [unrolled: 1-line block ×3, first 2 shown]
	v_lshrrev_b32_e32 v49, 16, v42
	v_fmac_f16_e32 v7, 0x34f2, v41
	v_fmac_f16_e32 v4, 0x34f2, v41
	v_add_f16_e32 v41, v79, v59
	v_fmac_f16_e32 v84, 0x38b4, v100
	v_add_f16_e32 v79, v101, v102
	v_fmamk_f16 v99, v100, 0xbb9c, v50
	v_fmac_f16_e32 v90, 0xb8b4, v100
	v_fma_f16 v54, -0.5, v54, v42
	v_sub_f16_e32 v59, v55, v60
	v_fmac_f16_e32 v50, 0x3b9c, v100
	v_add_f16_e32 v51, v51, v115
	v_add_f16_e32 v103, v93, v94
	v_fmac_f16_e32 v84, 0x34f2, v79
	v_fmac_f16_e32 v99, 0x38b4, v91
	;; [unrolled: 1-line block ×3, first 2 shown]
	v_fmamk_f16 v79, v59, 0xbb9c, v54
	v_sub_f16_e32 v100, v95, v57
	v_sub_f16_e32 v101, v93, v115
	;; [unrolled: 1-line block ×3, first 2 shown]
	v_fmac_f16_e32 v50, 0xb8b4, v91
	v_add_f16_e32 v51, v51, v52
	v_fmac_f16_e32 v42, -0.5, v103
	v_fmac_f16_e32 v54, 0x3b9c, v59
	v_add_f16_e32 v103, v49, v55
	v_fmac_f16_e32 v99, 0x34f2, v40
	v_fmac_f16_e32 v79, 0xb8b4, v100
	v_add_f16_e32 v91, v101, v102
	v_fmac_f16_e32 v50, 0x34f2, v40
	v_add_f16_e32 v40, v51, v94
	v_fmamk_f16 v51, v100, 0x3b9c, v42
	v_sub_f16_e32 v101, v115, v93
	v_sub_f16_e32 v102, v52, v94
	v_fmac_f16_e32 v54, 0x38b4, v100
	v_add_f16_e32 v104, v95, v57
	v_fmac_f16_e32 v42, 0xbb9c, v100
	v_add_f16_e32 v100, v103, v95
	;; [unrolled: 2-line block ×3, first 2 shown]
	v_fma_f16 v102, -0.5, v104, v49
	v_sub_f16_e32 v93, v93, v94
	v_fmac_f16_e32 v42, 0x38b4, v59
	v_add_f16_e32 v59, v100, v57
	v_add_f16_e32 v94, v55, v60
	v_fmac_f16_e32 v79, 0x34f2, v91
	v_fmac_f16_e32 v54, 0x34f2, v91
	v_fmamk_f16 v91, v93, 0x3b9c, v102
	v_sub_f16_e32 v52, v115, v52
	v_sub_f16_e32 v100, v55, v95
	;; [unrolled: 1-line block ×3, first 2 shown]
	v_fmac_f16_e32 v49, -0.5, v94
	v_add_f16_e32 v59, v59, v60
	v_fmac_f16_e32 v102, 0xbb9c, v93
	v_sub_f16_e32 v55, v95, v55
	v_sub_f16_e32 v57, v57, v60
	v_add_f16_e32 v60, v96, v97
	v_lshrrev_b32_e32 v48, 16, v43
	v_fmac_f16_e32 v91, 0x38b4, v52
	v_add_f16_e32 v94, v100, v103
	v_fmamk_f16 v100, v52, 0xbb9c, v49
	v_fmac_f16_e32 v102, 0xb8b4, v52
	v_add_f16_e32 v55, v55, v57
	v_add_f16_e32 v57, v43, v92
	v_fma_f16 v60, -0.5, v60, v43
	v_sub_f16_e32 v95, v12, v15
	v_fmac_f16_e32 v49, 0x3b9c, v52
	v_add_f16_e32 v104, v92, v56
	v_fmac_f16_e32 v51, 0x34f2, v101
	v_fmac_f16_e32 v42, 0x34f2, v101
	;; [unrolled: 1-line block ×5, first 2 shown]
	v_add_f16_e32 v52, v57, v96
	v_fmamk_f16 v57, v95, 0xbb9c, v60
	v_sub_f16_e32 v94, v13, v14
	v_sub_f16_e32 v101, v92, v96
	;; [unrolled: 1-line block ×3, first 2 shown]
	v_fmac_f16_e32 v49, 0xb8b4, v93
	v_fma_f16 v43, -0.5, v104, v43
	v_fmac_f16_e32 v60, 0x3b9c, v95
	v_add_f16_e32 v104, v48, v12
	v_fmac_f16_e32 v100, 0x34f2, v55
	v_add_f16_e32 v52, v52, v97
	;; [unrolled: 2-line block ×3, first 2 shown]
	v_fmac_f16_e32 v49, 0x34f2, v55
	v_fmamk_f16 v55, v94, 0x3b9c, v43
	v_sub_f16_e32 v101, v96, v92
	v_sub_f16_e32 v103, v97, v56
	v_fmac_f16_e32 v60, 0x38b4, v94
	v_add_f16_e32 v105, v13, v14
	v_fmac_f16_e32 v43, 0xbb9c, v94
	v_add_f16_e32 v94, v104, v13
	v_add_f16_e32 v52, v52, v56
	v_fmac_f16_e32 v55, 0xb8b4, v95
	v_add_f16_e32 v101, v101, v103
	v_fma_f16 v103, -0.5, v105, v48
	v_sub_f16_e32 v56, v92, v56
	v_fmac_f16_e32 v43, 0x38b4, v95
	v_add_f16_e32 v92, v94, v14
	v_add_f16_e32 v94, v12, v15
	v_sub_f16_e32 v95, v96, v97
	v_sub_f16_e32 v96, v12, v13
	;; [unrolled: 1-line block ×4, first 2 shown]
	v_fmac_f16_e32 v57, 0x34f2, v93
	v_fmac_f16_e32 v60, 0x34f2, v93
	v_fmamk_f16 v93, v56, 0x3b9c, v103
	v_sub_f16_e32 v97, v15, v14
	v_fmac_f16_e32 v48, -0.5, v94
	v_fmac_f16_e32 v103, 0xbb9c, v56
	v_add_f16_e32 v14, v81, v83
	v_add_f16_e32 v12, v12, v13
	;; [unrolled: 1-line block ×3, first 2 shown]
	v_lshrrev_b32_e32 v47, 16, v44
	v_add_f16_e32 v92, v92, v15
	v_fmac_f16_e32 v93, 0x38b4, v95
	v_add_f16_e32 v94, v96, v97
	v_fmamk_f16 v96, v95, 0xbb9c, v48
	v_fmac_f16_e32 v103, 0xb8b4, v95
	v_fma_f16 v14, -0.5, v14, v44
	v_sub_f16_e32 v15, v61, v82
	v_fmac_f16_e32 v48, 0x3b9c, v95
	v_add_f16_e32 v13, v13, v81
	v_add_f16_e32 v104, v58, v98
	v_fmac_f16_e32 v55, 0x34f2, v101
	v_fmac_f16_e32 v43, 0x34f2, v101
	;; [unrolled: 1-line block ×5, first 2 shown]
	v_fmamk_f16 v94, v15, 0xbb9c, v14
	v_sub_f16_e32 v95, v62, v89
	v_sub_f16_e32 v97, v58, v81
	;; [unrolled: 1-line block ×3, first 2 shown]
	v_fmac_f16_e32 v48, 0xb8b4, v56
	v_add_f16_e32 v13, v13, v83
	v_fmac_f16_e32 v44, -0.5, v104
	v_fmac_f16_e32 v14, 0x3b9c, v15
	v_add_f16_e32 v104, v47, v61
	v_fmac_f16_e32 v96, 0x34f2, v12
	v_fmac_f16_e32 v94, 0xb8b4, v95
	v_add_f16_e32 v56, v97, v101
	v_fmac_f16_e32 v48, 0x34f2, v12
	v_add_f16_e32 v12, v13, v98
	v_fmamk_f16 v13, v95, 0x3b9c, v44
	v_sub_f16_e32 v97, v81, v58
	v_sub_f16_e32 v101, v83, v98
	v_fmac_f16_e32 v14, 0x38b4, v95
	v_add_f16_e32 v105, v62, v89
	v_fmac_f16_e32 v44, 0xbb9c, v95
	v_add_f16_e32 v95, v104, v62
	;; [unrolled: 2-line block ×3, first 2 shown]
	v_fma_f16 v101, -0.5, v105, v47
	v_sub_f16_e32 v58, v58, v98
	v_fmac_f16_e32 v44, 0x38b4, v15
	v_add_f16_e32 v15, v95, v89
	v_add_f16_e32 v95, v61, v82
	v_fmac_f16_e32 v94, 0x34f2, v56
	v_fmac_f16_e32 v14, 0x34f2, v56
	v_fmamk_f16 v56, v58, 0x3b9c, v101
	v_sub_f16_e32 v81, v81, v83
	v_sub_f16_e32 v83, v61, v62
	;; [unrolled: 1-line block ×3, first 2 shown]
	v_fmac_f16_e32 v47, -0.5, v95
	v_add_f16_e32 v15, v15, v82
	v_fmac_f16_e32 v101, 0xbb9c, v58
	v_sub_f16_e32 v61, v62, v61
	v_sub_f16_e32 v62, v89, v82
	v_add_f16_e32 v82, v8, v10
	v_fmac_f16_e32 v56, 0x38b4, v81
	v_add_f16_e32 v83, v83, v98
	v_fmamk_f16 v95, v81, 0xbb9c, v47
	v_fmac_f16_e32 v101, 0xb8b4, v81
	v_add_f16_e32 v61, v61, v62
	v_fmac_f16_e32 v47, 0x3b9c, v81
	v_add_f16_e32 v62, v39, v9
	v_fma_f16 v81, -0.5, v82, v39
	v_sub_f16_e32 v82, v1, v11
	v_fmac_f16_e32 v13, 0x34f2, v97
	v_fmac_f16_e32 v44, 0x34f2, v97
	;; [unrolled: 1-line block ×6, first 2 shown]
	v_add_f16_e32 v58, v62, v8
	v_fmamk_f16 v62, v82, 0xbb9c, v81
	v_sub_f16_e32 v83, v2, v5
	v_sub_f16_e32 v89, v9, v8
	;; [unrolled: 1-line block ×3, first 2 shown]
	v_fmac_f16_e32 v81, 0x3b9c, v82
	v_add_f16_e32 v98, v9, v53
	v_lshrrev_b32_e32 v46, 16, v39
	v_add_f16_e32 v58, v58, v10
	v_fmac_f16_e32 v62, 0xb8b4, v83
	v_add_f16_e32 v89, v89, v97
	v_fmac_f16_e32 v81, 0x38b4, v83
	v_fmac_f16_e32 v39, -0.5, v98
	v_sub_f16_e32 v97, v8, v9
	v_sub_f16_e32 v98, v10, v53
	v_fmac_f16_e32 v95, 0x34f2, v61
	v_fmac_f16_e32 v47, 0x34f2, v61
	v_add_f16_e32 v58, v58, v53
	v_fmac_f16_e32 v62, 0x34f2, v89
	v_fmac_f16_e32 v81, 0x34f2, v89
	v_fmamk_f16 v61, v83, 0x3b9c, v39
	v_add_f16_e32 v89, v2, v5
	v_fmac_f16_e32 v39, 0xbb9c, v83
	v_sub_f16_e32 v9, v9, v53
	v_add_f16_e32 v53, v97, v98
	v_add_f16_e32 v97, v1, v11
	;; [unrolled: 1-line block ×3, first 2 shown]
	v_fma_f16 v89, -0.5, v89, v46
	v_fmac_f16_e32 v61, 0xb8b4, v82
	v_fmac_f16_e32 v39, 0x38b4, v82
	v_sub_f16_e32 v8, v8, v10
	v_fmac_f16_e32 v46, -0.5, v97
	v_add_f16_e32 v82, v83, v2
	v_fmac_f16_e32 v61, 0x34f2, v53
	v_fmac_f16_e32 v39, 0x34f2, v53
	v_sub_f16_e32 v53, v1, v2
	v_fmamk_f16 v97, v8, 0xbb9c, v46
	v_sub_f16_e32 v1, v2, v1
	v_sub_f16_e32 v2, v5, v11
	v_fmac_f16_e32 v46, 0x3b9c, v8
	v_fmamk_f16 v83, v9, 0x3b9c, v89
	v_add_f16_e32 v10, v82, v5
	v_sub_f16_e32 v82, v11, v5
	v_fmac_f16_e32 v89, 0xbb9c, v9
	v_fmac_f16_e32 v97, 0x38b4, v9
	v_add_f16_e32 v1, v1, v2
	v_fmac_f16_e32 v46, 0xb8b4, v9
	v_fmac_f16_e32 v83, 0x38b4, v8
	v_add_f16_e32 v5, v53, v82
	v_fmac_f16_e32 v89, 0xb8b4, v8
	v_fmac_f16_e32 v97, 0x34f2, v1
	;; [unrolled: 1-line block ×3, first 2 shown]
	v_pack_b32_f16 v1, v6, v41
	v_pack_b32_f16 v3, v3, v84
	v_fmac_f16_e32 v83, 0x34f2, v5
	v_fmac_f16_e32 v89, 0x34f2, v5
	v_pack_b32_f16 v5, v7, v99
	v_pack_b32_f16 v4, v4, v50
	;; [unrolled: 1-line block ×6, first 2 shown]
	ds_write2_b32 v64, v1, v3 offset1:13
	ds_write2_b32 v64, v5, v4 offset0:26 offset1:39
	ds_write2_b32 v64, v0, v6 offset0:52 offset1:65
	;; [unrolled: 1-line block ×3, first 2 shown]
	v_pack_b32_f16 v0, v42, v49
	v_pack_b32_f16 v1, v54, v102
	;; [unrolled: 1-line block ×4, first 2 shown]
	v_add_f16_e32 v2, v10, v11
	v_pack_b32_f16 v5, v55, v96
	v_pack_b32_f16 v6, v43, v48
	;; [unrolled: 1-line block ×5, first 2 shown]
	ds_write2_b32 v64, v0, v1 offset0:104 offset1:117
	ds_write2_b32 v86, v3, v4 offset0:130 offset1:143
	;; [unrolled: 1-line block ×3, first 2 shown]
	ds_write_b32 v86, v7 offset:728
	ds_write2_b32 v85, v8, v9 offset0:195 offset1:208
	v_pack_b32_f16 v0, v13, v95
	v_pack_b32_f16 v1, v44, v47
	;; [unrolled: 1-line block ×5, first 2 shown]
	v_add_nc_u32_e32 v5, 0x400, v87
	v_pack_b32_f16 v6, v61, v97
	v_pack_b32_f16 v7, v39, v46
	v_pack_b32_f16 v8, v81, v89
	ds_write2_b32 v85, v0, v1 offset0:221 offset1:234
	ds_write_b32 v85, v3 offset:988
	ds_write2_b32 v5, v2, v4 offset0:4 offset1:17
	ds_write2_b32 v5, v6, v7 offset0:30 offset1:43
	ds_write_b32 v87, v8 offset:1248
	s_waitcnt lgkmcnt(0)
	s_barrier
	buffer_gl0_inv
	ds_read2_b32 v[2:3], v64 offset1:13
	ds_read2_b32 v[0:1], v64 offset0:52 offset1:65
	ds_read2_b32 v[11:12], v64 offset0:130 offset1:143
	;; [unrolled: 1-line block ×11, first 2 shown]
	ds_read_b32 v57, v64 offset:1248
	s_waitcnt lgkmcnt(12)
	v_lshrrev_b32_e32 v10, 16, v2
	s_waitcnt lgkmcnt(11)
	v_lshrrev_b32_e32 v13, 16, v1
	;; [unrolled: 2-line block ×6, first 2 shown]
	v_mul_f16_sdwa v87, v28, v13 dst_sel:DWORD dst_unused:UNUSED_PAD src0_sel:WORD_1 src1_sel:DWORD
	v_mul_f16_sdwa v93, v29, v54 dst_sel:DWORD dst_unused:UNUSED_PAD src0_sel:WORD_1 src1_sel:DWORD
	;; [unrolled: 1-line block ×5, first 2 shown]
	v_fmac_f16_e32 v87, v28, v1
	v_mul_f16_sdwa v1, v28, v1 dst_sel:DWORD dst_unused:UNUSED_PAD src0_sel:WORD_1 src1_sel:DWORD
	v_lshrrev_b32_e32 v59, 16, v12
	v_lshrrev_b32_e32 v61, 16, v40
	v_fmac_f16_e32 v93, v29, v11
	v_fma_f16 v29, v29, v54, -v94
	v_fma_f16 v28, v28, v13, -v1
	v_fmac_f16_e32 v95, v30, v15
	v_fma_f16 v30, v30, v55, -v96
	v_mul_f16_sdwa v54, v31, v56 dst_sel:DWORD dst_unused:UNUSED_PAD src0_sel:WORD_1 src1_sel:DWORD
	v_mul_f16_sdwa v1, v31, v39 dst_sel:DWORD dst_unused:UNUSED_PAD src0_sel:WORD_1 src1_sel:DWORD
	;; [unrolled: 1-line block ×3, first 2 shown]
	s_waitcnt lgkmcnt(6)
	v_lshrrev_b32_e32 v60, 16, v43
	v_lshrrev_b32_e32 v62, 16, v42
	v_mul_f16_sdwa v11, v32, v41 dst_sel:DWORD dst_unused:UNUSED_PAD src0_sel:WORD_1 src1_sel:DWORD
	v_mul_f16_sdwa v94, v33, v59 dst_sel:DWORD dst_unused:UNUSED_PAD src0_sel:WORD_1 src1_sel:DWORD
	v_fmac_f16_e32 v54, v31, v39
	v_fma_f16 v31, v31, v56, -v1
	v_fmac_f16_e32 v55, v32, v41
	v_mul_f16_sdwa v1, v33, v12 dst_sel:DWORD dst_unused:UNUSED_PAD src0_sel:WORD_1 src1_sel:DWORD
	v_mul_f16_sdwa v41, v35, v61 dst_sel:DWORD dst_unused:UNUSED_PAD src0_sel:WORD_1 src1_sel:DWORD
	s_waitcnt lgkmcnt(4)
	v_lshrrev_b32_e32 v79, 16, v46
	v_lshrrev_b32_e32 v81, 16, v44
	v_fmac_f16_e32 v94, v33, v12
	v_mul_f16_sdwa v39, v34, v60 dst_sel:DWORD dst_unused:UNUSED_PAD src0_sel:WORD_1 src1_sel:DWORD
	v_mul_f16_sdwa v12, v35, v40 dst_sel:DWORD dst_unused:UNUSED_PAD src0_sel:WORD_1 src1_sel:DWORD
	v_fma_f16 v33, v33, v59, -v1
	v_fmac_f16_e32 v41, v35, v40
	v_mul_f16_sdwa v40, v24, v62 dst_sel:DWORD dst_unused:UNUSED_PAD src0_sel:WORD_1 src1_sel:DWORD
	v_mul_f16_sdwa v1, v24, v42 dst_sel:DWORD dst_unused:UNUSED_PAD src0_sel:WORD_1 src1_sel:DWORD
	s_waitcnt lgkmcnt(2)
	v_lshrrev_b32_e32 v83, 16, v50
	v_lshrrev_b32_e32 v84, 16, v47
	v_fma_f16 v32, v32, v58, -v11
	v_mul_f16_sdwa v11, v34, v43 dst_sel:DWORD dst_unused:UNUSED_PAD src0_sel:WORD_1 src1_sel:DWORD
	v_fmac_f16_e32 v39, v34, v43
	v_mul_f16_sdwa v43, v25, v79 dst_sel:DWORD dst_unused:UNUSED_PAD src0_sel:WORD_1 src1_sel:DWORD
	v_mul_f16_sdwa v56, v26, v81 dst_sel:DWORD dst_unused:UNUSED_PAD src0_sel:WORD_1 src1_sel:DWORD
	v_fmac_f16_e32 v40, v24, v42
	v_fma_f16 v24, v24, v62, -v1
	v_mul_f16_sdwa v1, v26, v44 dst_sel:DWORD dst_unused:UNUSED_PAD src0_sel:WORD_1 src1_sel:DWORD
	v_lshrrev_b32_e32 v82, 16, v48
	v_lshrrev_b32_e32 v86, 16, v49
	v_fma_f16 v34, v34, v60, -v11
	v_mul_f16_sdwa v11, v25, v46 dst_sel:DWORD dst_unused:UNUSED_PAD src0_sel:WORD_1 src1_sel:DWORD
	v_fmac_f16_e32 v43, v25, v46
	v_fmac_f16_e32 v56, v26, v44
	v_mul_f16_sdwa v44, v20, v83 dst_sel:DWORD dst_unused:UNUSED_PAD src0_sel:WORD_1 src1_sel:DWORD
	v_fma_f16 v26, v26, v81, -v1
	v_mul_f16_sdwa v46, v21, v84 dst_sel:DWORD dst_unused:UNUSED_PAD src0_sel:WORD_1 src1_sel:DWORD
	v_mul_f16_sdwa v1, v21, v47 dst_sel:DWORD dst_unused:UNUSED_PAD src0_sel:WORD_1 src1_sel:DWORD
	s_waitcnt lgkmcnt(1)
	v_lshrrev_b32_e32 v85, 16, v52
	v_lshrrev_b32_e32 v89, 16, v51
	;; [unrolled: 1-line block ×3, first 2 shown]
	v_fma_f16 v35, v35, v61, -v12
	v_fma_f16 v25, v25, v79, -v11
	v_mul_f16_sdwa v42, v27, v82 dst_sel:DWORD dst_unused:UNUSED_PAD src0_sel:WORD_1 src1_sel:DWORD
	v_mul_f16_sdwa v11, v27, v48 dst_sel:DWORD dst_unused:UNUSED_PAD src0_sel:WORD_1 src1_sel:DWORD
	;; [unrolled: 1-line block ×3, first 2 shown]
	v_fmac_f16_e32 v44, v20, v50
	v_mul_f16_sdwa v50, v23, v86 dst_sel:DWORD dst_unused:UNUSED_PAD src0_sel:WORD_1 src1_sel:DWORD
	v_fmac_f16_e32 v46, v21, v47
	v_fma_f16 v21, v21, v84, -v1
	v_mul_f16_sdwa v1, v23, v49 dst_sel:DWORD dst_unused:UNUSED_PAD src0_sel:WORD_1 src1_sel:DWORD
	v_lshrrev_b32_e32 v91, 16, v53
	s_waitcnt lgkmcnt(0)
	v_lshrrev_b32_e32 v92, 16, v57
	v_fmac_f16_e32 v42, v27, v48
	v_fma_f16 v27, v27, v82, -v11
	v_fma_f16 v20, v20, v83, -v12
	v_mul_f16_sdwa v48, v22, v85 dst_sel:DWORD dst_unused:UNUSED_PAD src0_sel:WORD_1 src1_sel:DWORD
	v_mul_f16_sdwa v11, v22, v52 dst_sel:DWORD dst_unused:UNUSED_PAD src0_sel:WORD_1 src1_sel:DWORD
	v_fmac_f16_e32 v50, v23, v49
	v_mul_f16_sdwa v15, v16, v89 dst_sel:DWORD dst_unused:UNUSED_PAD src0_sel:WORD_1 src1_sel:DWORD
	v_mul_f16_sdwa v13, v17, v90 dst_sel:DWORD dst_unused:UNUSED_PAD src0_sel:WORD_1 src1_sel:DWORD
	;; [unrolled: 1-line block ×3, first 2 shown]
	v_fma_f16 v23, v23, v86, -v1
	v_add_f16_e32 v1, v93, v95
	v_fmac_f16_e32 v48, v22, v52
	v_fma_f16 v22, v22, v85, -v11
	v_mul_f16_sdwa v11, v16, v51 dst_sel:DWORD dst_unused:UNUSED_PAD src0_sel:WORD_1 src1_sel:DWORD
	v_fmac_f16_e32 v15, v16, v51
	v_fmac_f16_e32 v13, v17, v14
	v_fma_f16 v12, v17, v90, -v12
	v_mul_f16_sdwa v17, v18, v91 dst_sel:DWORD dst_unused:UNUSED_PAD src0_sel:WORD_1 src1_sel:DWORD
	v_mul_f16_sdwa v14, v18, v53 dst_sel:DWORD dst_unused:UNUSED_PAD src0_sel:WORD_1 src1_sel:DWORD
	;; [unrolled: 1-line block ×3, first 2 shown]
	v_add_f16_e32 v49, v2, v87
	v_fma_f16 v1, -0.5, v1, v2
	v_sub_f16_e32 v51, v28, v31
	v_fma_f16 v11, v16, v89, -v11
	v_fmac_f16_e32 v17, v18, v53
	v_fma_f16 v16, v18, v91, -v14
	v_fmac_f16_e32 v47, v19, v57
	v_add_f16_e32 v18, v49, v93
	v_fmamk_f16 v14, v51, 0xbb9c, v1
	v_sub_f16_e32 v49, v29, v30
	v_sub_f16_e32 v52, v87, v93
	;; [unrolled: 1-line block ×3, first 2 shown]
	v_add_f16_e32 v58, v87, v54
	v_mul_f16_sdwa v57, v19, v57 dst_sel:DWORD dst_unused:UNUSED_PAD src0_sel:WORD_1 src1_sel:DWORD
	v_fmac_f16_e32 v1, 0x3b9c, v51
	v_add_f16_e32 v18, v18, v95
	v_fmac_f16_e32 v14, 0xb8b4, v49
	v_add_f16_e32 v52, v52, v53
	v_fma_f16 v2, -0.5, v58, v2
	v_fma_f16 v53, v19, v92, -v57
	v_sub_f16_e32 v57, v93, v87
	v_sub_f16_e32 v58, v95, v54
	v_fmac_f16_e32 v1, 0x38b4, v49
	v_add_f16_e32 v59, v10, v28
	v_add_f16_e32 v60, v29, v30
	;; [unrolled: 1-line block ×3, first 2 shown]
	v_fmac_f16_e32 v14, 0x34f2, v52
	v_fmamk_f16 v18, v49, 0x3b9c, v2
	v_add_f16_e32 v57, v57, v58
	v_fmac_f16_e32 v2, 0xbb9c, v49
	v_add_f16_e32 v49, v59, v29
	v_fma_f16 v58, -0.5, v60, v10
	v_sub_f16_e32 v54, v87, v54
	v_fmac_f16_e32 v1, 0x34f2, v52
	v_add_f16_e32 v52, v28, v31
	v_sub_f16_e32 v60, v28, v29
	v_sub_f16_e32 v28, v29, v28
	;; [unrolled: 1-line block ×3, first 2 shown]
	v_fmac_f16_e32 v18, 0xb8b4, v51
	v_fmac_f16_e32 v2, 0x38b4, v51
	v_add_f16_e32 v49, v49, v30
	v_fmamk_f16 v51, v54, 0x3b9c, v58
	v_sub_f16_e32 v59, v93, v95
	v_sub_f16_e32 v61, v31, v30
	v_fmac_f16_e32 v10, -0.5, v52
	v_fmac_f16_e32 v58, 0xbb9c, v54
	v_add_f16_e32 v30, v94, v39
	v_add_f16_e32 v28, v28, v29
	;; [unrolled: 1-line block ×3, first 2 shown]
	v_lshrrev_b32_e32 v9, 16, v3
	v_fmac_f16_e32 v18, 0x34f2, v57
	v_fmac_f16_e32 v2, 0x34f2, v57
	v_add_f16_e32 v49, v49, v31
	v_fmac_f16_e32 v51, 0x38b4, v59
	v_add_f16_e32 v52, v60, v61
	v_fmamk_f16 v57, v59, 0xbb9c, v10
	v_fmac_f16_e32 v58, 0xb8b4, v59
	v_fma_f16 v30, -0.5, v30, v3
	v_sub_f16_e32 v31, v32, v35
	v_fmac_f16_e32 v10, 0x3b9c, v59
	v_add_f16_e32 v29, v29, v94
	v_add_f16_e32 v62, v55, v41
	v_fmac_f16_e32 v51, 0x34f2, v52
	v_fmac_f16_e32 v57, 0x38b4, v54
	;; [unrolled: 1-line block ×3, first 2 shown]
	v_fmamk_f16 v52, v31, 0xbb9c, v30
	v_sub_f16_e32 v59, v33, v34
	v_sub_f16_e32 v60, v55, v94
	v_sub_f16_e32 v61, v41, v39
	v_fmac_f16_e32 v10, 0xb8b4, v54
	v_add_f16_e32 v29, v29, v39
	v_fmac_f16_e32 v3, -0.5, v62
	v_fmac_f16_e32 v30, 0x3b9c, v31
	v_add_f16_e32 v62, v9, v32
	v_fmac_f16_e32 v57, 0x34f2, v28
	v_fmac_f16_e32 v52, 0xb8b4, v59
	v_add_f16_e32 v54, v60, v61
	v_fmac_f16_e32 v10, 0x34f2, v28
	v_add_f16_e32 v28, v29, v41
	v_fmamk_f16 v29, v59, 0x3b9c, v3
	v_sub_f16_e32 v60, v94, v55
	v_sub_f16_e32 v61, v39, v41
	v_fmac_f16_e32 v30, 0x38b4, v59
	v_add_f16_e32 v79, v33, v34
	v_fmac_f16_e32 v3, 0xbb9c, v59
	v_add_f16_e32 v59, v62, v33
	;; [unrolled: 2-line block ×3, first 2 shown]
	v_fma_f16 v61, -0.5, v79, v9
	v_sub_f16_e32 v41, v55, v41
	v_fmac_f16_e32 v3, 0x38b4, v31
	v_add_f16_e32 v31, v59, v34
	v_add_f16_e32 v55, v32, v35
	v_sub_f16_e32 v59, v32, v33
	v_sub_f16_e32 v32, v33, v32
	;; [unrolled: 1-line block ×3, first 2 shown]
	v_fmac_f16_e32 v52, 0x34f2, v54
	v_fmac_f16_e32 v30, 0x34f2, v54
	v_fmamk_f16 v54, v41, 0x3b9c, v61
	v_sub_f16_e32 v39, v94, v39
	v_sub_f16_e32 v62, v35, v34
	v_fmac_f16_e32 v9, -0.5, v55
	v_fmac_f16_e32 v61, 0xbb9c, v41
	v_add_f16_e32 v34, v43, v56
	v_add_f16_e32 v32, v32, v33
	;; [unrolled: 1-line block ×3, first 2 shown]
	v_lshrrev_b32_e32 v7, 16, v4
	v_add_f16_e32 v31, v31, v35
	v_fmac_f16_e32 v54, 0x38b4, v39
	v_add_f16_e32 v55, v59, v62
	v_fmamk_f16 v59, v39, 0xbb9c, v9
	v_fmac_f16_e32 v61, 0xb8b4, v39
	v_fma_f16 v34, -0.5, v34, v4
	v_sub_f16_e32 v35, v24, v27
	v_fmac_f16_e32 v9, 0x3b9c, v39
	v_add_f16_e32 v33, v33, v43
	v_add_f16_e32 v79, v40, v42
	v_fmac_f16_e32 v29, 0x34f2, v60
	v_fmac_f16_e32 v3, 0x34f2, v60
	;; [unrolled: 1-line block ×5, first 2 shown]
	v_fmamk_f16 v39, v35, 0xbb9c, v34
	v_sub_f16_e32 v55, v25, v26
	v_sub_f16_e32 v60, v40, v43
	;; [unrolled: 1-line block ×3, first 2 shown]
	v_fmac_f16_e32 v9, 0xb8b4, v41
	v_add_f16_e32 v33, v33, v56
	v_fma_f16 v4, -0.5, v79, v4
	v_fmac_f16_e32 v34, 0x3b9c, v35
	v_add_f16_e32 v79, v7, v24
	v_fmac_f16_e32 v59, 0x34f2, v32
	v_fmac_f16_e32 v39, 0xb8b4, v55
	v_add_f16_e32 v41, v60, v62
	v_fmac_f16_e32 v9, 0x34f2, v32
	v_add_f16_e32 v32, v33, v42
	v_fmamk_f16 v33, v55, 0x3b9c, v4
	v_sub_f16_e32 v60, v43, v40
	v_sub_f16_e32 v62, v56, v42
	v_fmac_f16_e32 v34, 0x38b4, v55
	v_add_f16_e32 v81, v25, v26
	v_fmac_f16_e32 v4, 0xbb9c, v55
	v_add_f16_e32 v55, v79, v25
	;; [unrolled: 2-line block ×3, first 2 shown]
	v_fma_f16 v62, -0.5, v81, v7
	v_sub_f16_e32 v40, v40, v42
	v_fmac_f16_e32 v4, 0x38b4, v35
	v_add_f16_e32 v35, v55, v26
	v_add_f16_e32 v42, v24, v27
	v_sub_f16_e32 v55, v24, v25
	v_sub_f16_e32 v24, v25, v24
	;; [unrolled: 1-line block ×3, first 2 shown]
	v_fmac_f16_e32 v39, 0x34f2, v41
	v_fmac_f16_e32 v34, 0x34f2, v41
	v_fmamk_f16 v41, v40, 0x3b9c, v62
	v_sub_f16_e32 v43, v43, v56
	v_sub_f16_e32 v56, v27, v26
	v_fmac_f16_e32 v7, -0.5, v42
	v_fmac_f16_e32 v62, 0xbb9c, v40
	v_add_f16_e32 v26, v46, v48
	v_add_f16_e32 v24, v24, v25
	;; [unrolled: 1-line block ×3, first 2 shown]
	v_lshrrev_b32_e32 v8, 16, v5
	v_add_f16_e32 v35, v35, v27
	v_fmac_f16_e32 v41, 0x38b4, v43
	v_add_f16_e32 v42, v55, v56
	v_fmamk_f16 v55, v43, 0xbb9c, v7
	v_fmac_f16_e32 v62, 0xb8b4, v43
	v_fma_f16 v26, -0.5, v26, v5
	v_sub_f16_e32 v27, v20, v23
	v_fmac_f16_e32 v7, 0x3b9c, v43
	v_add_f16_e32 v25, v25, v46
	v_add_f16_e32 v79, v44, v50
	v_fmac_f16_e32 v33, 0x34f2, v60
	v_fmac_f16_e32 v4, 0x34f2, v60
	;; [unrolled: 1-line block ×5, first 2 shown]
	v_fmamk_f16 v42, v27, 0xbb9c, v26
	v_sub_f16_e32 v43, v21, v22
	v_sub_f16_e32 v56, v44, v46
	;; [unrolled: 1-line block ×3, first 2 shown]
	v_fmac_f16_e32 v7, 0xb8b4, v40
	v_add_f16_e32 v25, v25, v48
	v_fmac_f16_e32 v5, -0.5, v79
	v_fmac_f16_e32 v26, 0x3b9c, v27
	v_add_f16_e32 v79, v8, v20
	v_fmac_f16_e32 v55, 0x34f2, v24
	v_fmac_f16_e32 v42, 0xb8b4, v43
	v_add_f16_e32 v40, v56, v60
	v_fmac_f16_e32 v7, 0x34f2, v24
	v_add_f16_e32 v24, v25, v50
	v_fmamk_f16 v25, v43, 0x3b9c, v5
	v_sub_f16_e32 v56, v46, v44
	v_sub_f16_e32 v60, v48, v50
	v_fmac_f16_e32 v26, 0x38b4, v43
	v_add_f16_e32 v81, v21, v22
	v_fmac_f16_e32 v5, 0xbb9c, v43
	v_add_f16_e32 v43, v79, v21
	;; [unrolled: 2-line block ×3, first 2 shown]
	v_fma_f16 v60, -0.5, v81, v8
	v_sub_f16_e32 v44, v44, v50
	v_fmac_f16_e32 v5, 0x38b4, v27
	v_add_f16_e32 v27, v43, v22
	v_add_f16_e32 v43, v20, v23
	v_fmac_f16_e32 v42, 0x34f2, v40
	v_fmac_f16_e32 v26, 0x34f2, v40
	v_fmamk_f16 v40, v44, 0x3b9c, v60
	v_sub_f16_e32 v46, v46, v48
	v_sub_f16_e32 v48, v20, v21
	;; [unrolled: 1-line block ×3, first 2 shown]
	v_fmac_f16_e32 v8, -0.5, v43
	v_fmac_f16_e32 v60, 0xbb9c, v44
	v_sub_f16_e32 v20, v21, v20
	v_sub_f16_e32 v21, v22, v23
	v_add_f16_e32 v22, v13, v17
	v_add_f16_e32 v27, v27, v23
	v_fmac_f16_e32 v40, 0x38b4, v46
	v_add_f16_e32 v43, v48, v50
	v_fmamk_f16 v48, v46, 0xbb9c, v8
	v_fmac_f16_e32 v60, 0xb8b4, v46
	v_fmac_f16_e32 v8, 0x3b9c, v46
	v_fma_f16 v22, -0.5, v22, v0
	v_sub_f16_e32 v23, v11, v53
	v_fmac_f16_e32 v40, 0x34f2, v43
	v_fmac_f16_e32 v48, 0x38b4, v44
	v_add_f16_e32 v20, v20, v21
	v_add_f16_e32 v21, v0, v15
	v_fmac_f16_e32 v60, 0x34f2, v43
	v_fmac_f16_e32 v8, 0xb8b4, v44
	v_fmamk_f16 v43, v23, 0xbb9c, v22
	v_sub_f16_e32 v44, v12, v16
	v_sub_f16_e32 v46, v15, v13
	;; [unrolled: 1-line block ×3, first 2 shown]
	v_fmac_f16_e32 v22, 0x3b9c, v23
	v_lshrrev_b32_e32 v6, 16, v0
	v_fmac_f16_e32 v25, 0x34f2, v56
	v_fmac_f16_e32 v5, 0x34f2, v56
	v_add_f16_e32 v21, v21, v13
	v_add_f16_e32 v56, v15, v47
	v_fmac_f16_e32 v43, 0xb8b4, v44
	v_add_f16_e32 v46, v46, v50
	v_fmac_f16_e32 v22, 0x38b4, v44
	v_add_f16_e32 v21, v21, v17
	v_fmac_f16_e32 v0, -0.5, v56
	v_add_f16_e32 v50, v12, v16
	v_fmac_f16_e32 v43, 0x34f2, v46
	v_fmac_f16_e32 v22, 0x34f2, v46
	v_add_f16_e32 v46, v6, v11
	v_fmac_f16_e32 v48, 0x34f2, v20
	v_fmac_f16_e32 v8, 0x34f2, v20
	v_add_f16_e32 v20, v21, v47
	v_fmamk_f16 v21, v44, 0x3b9c, v0
	v_fmac_f16_e32 v0, 0xbb9c, v44
	v_add_f16_e32 v44, v46, v12
	v_fma_f16 v46, -0.5, v50, v6
	v_add_f16_e32 v50, v11, v53
	v_sub_f16_e32 v56, v13, v15
	v_sub_f16_e32 v79, v17, v47
	v_fmac_f16_e32 v21, 0xb8b4, v23
	v_fmac_f16_e32 v0, 0x38b4, v23
	v_add_f16_e32 v23, v44, v16
	v_sub_f16_e32 v13, v13, v17
	v_fmac_f16_e32 v6, -0.5, v50
	v_sub_f16_e32 v15, v15, v47
	v_add_f16_e32 v47, v56, v79
	v_add_f16_e32 v17, v23, v53
	v_sub_f16_e32 v23, v11, v12
	v_fmamk_f16 v50, v13, 0xbb9c, v6
	v_sub_f16_e32 v11, v12, v11
	v_sub_f16_e32 v12, v16, v53
	v_fmac_f16_e32 v6, 0x3b9c, v13
	v_fmamk_f16 v44, v15, 0x3b9c, v46
	v_fmac_f16_e32 v21, 0x34f2, v47
	v_fmac_f16_e32 v0, 0x34f2, v47
	v_sub_f16_e32 v47, v53, v16
	v_fmac_f16_e32 v46, 0xbb9c, v15
	v_fmac_f16_e32 v50, 0x38b4, v15
	v_add_f16_e32 v11, v11, v12
	v_fmac_f16_e32 v6, 0xb8b4, v15
	v_pack_b32_f16 v12, v19, v49
	v_fmac_f16_e32 v44, 0x38b4, v13
	v_add_f16_e32 v16, v23, v47
	v_fmac_f16_e32 v46, 0xb8b4, v13
	v_fmac_f16_e32 v50, 0x34f2, v11
	;; [unrolled: 1-line block ×3, first 2 shown]
	v_pack_b32_f16 v11, v14, v51
	v_pack_b32_f16 v13, v52, v54
	ds_write_b32 v64, v12
	v_pack_b32_f16 v12, v18, v57
	v_pack_b32_f16 v14, v29, v59
	;; [unrolled: 1-line block ×6, first 2 shown]
	v_add_nc_u32_e32 v15, 0x400, v80
	v_fmac_f16_e32 v44, 0x34f2, v16
	v_fmac_f16_e32 v46, 0x34f2, v16
	v_pack_b32_f16 v10, v28, v31
	v_pack_b32_f16 v16, v32, v35
	ds_write2_b32 v80, v11, v13 offset0:65 offset1:78
	ds_write2_b32 v80, v12, v14 offset0:130 offset1:143
	;; [unrolled: 1-line block ×5, first 2 shown]
	v_pack_b32_f16 v1, v39, v41
	v_pack_b32_f16 v3, v42, v40
	;; [unrolled: 1-line block ×5, first 2 shown]
	ds_write2_b32 v80, v1, v3 offset0:91 offset1:104
	ds_write2_b32 v80, v2, v9 offset0:156 offset1:169
	v_pack_b32_f16 v1, v5, v8
	v_pack_b32_f16 v7, v34, v62
	;; [unrolled: 1-line block ×9, first 2 shown]
	v_add_nc_u32_e32 v9, 0x200, v88
	ds_write2_b32 v80, v4, v1 offset0:221 offset1:234
	ds_write2_b32 v15, v7, v2 offset0:30 offset1:43
	;; [unrolled: 1-line block ×5, first 2 shown]
	s_waitcnt lgkmcnt(0)
	s_barrier
	buffer_gl0_inv
	ds_read2_b32 v[0:1], v64 offset1:25
	s_waitcnt lgkmcnt(0)
	v_lshrrev_b32_e32 v4, 16, v0
	v_lshrrev_b32_e32 v11, 16, v1
	v_mul_f16_sdwa v2, v78, v4 dst_sel:DWORD dst_unused:UNUSED_PAD src0_sel:WORD_1 src1_sel:DWORD
	v_fmac_f16_e32 v2, v78, v0
	v_mul_f16_sdwa v0, v78, v0 dst_sel:DWORD dst_unused:UNUSED_PAD src0_sel:WORD_1 src1_sel:DWORD
	v_cvt_f32_f16_e32 v2, v2
	v_fma_f16 v0, v78, v4, -v0
	v_cvt_f64_f32_e32 v[2:3], v2
	v_cvt_f32_f16_e32 v0, v0
	v_cvt_f64_f32_e32 v[4:5], v0
	v_mul_f64 v[2:3], v[2:3], s[4:5]
	v_mul_f64 v[4:5], v[4:5], s[4:5]
	v_and_or_b32 v0, 0x1ff, v3, v2
	v_lshrrev_b32_e32 v2, 8, v3
	v_bfe_u32 v6, v3, 20, 11
	v_cmp_ne_u32_e64 s0, 0, v0
	v_and_or_b32 v4, 0x1ff, v5, v4
	v_lshrrev_b32_e32 v9, 8, v5
	v_bfe_u32 v10, v5, 20, 11
	v_add_nc_u32_e32 v12, 0xfffffc10, v6
	v_cndmask_b32_e64 v0, 0, 1, s0
	v_cmp_ne_u32_e64 s0, 0, v4
	v_add_nc_u32_e32 v17, 0xfffffc10, v10
	v_and_or_b32 v2, 0xffe, v2, v0
	v_sub_nc_u32_e32 v0, 0x3f1, v6
	v_cndmask_b32_e64 v4, 0, 1, s0
	v_cmp_gt_i32_e64 s2, 1, v17
	v_or_b32_e32 v7, 0x1000, v2
	v_med3_i32 v0, v0, 0, 13
	v_and_or_b32 v4, 0xffe, v9, v4
	v_sub_nc_u32_e32 v9, 0x3f1, v10
	v_lshrrev_b32_e32 v8, v0, v7
	v_or_b32_e32 v13, 0x1000, v4
	v_med3_i32 v6, v9, 0, 13
	v_lshl_or_b32 v10, v17, 12, v4
	v_lshlrev_b32_e32 v0, v0, v8
	v_lshrrev_b32_e32 v14, v6, v13
	v_cmp_ne_u32_e64 s0, v0, v7
	v_mul_f16_sdwa v7, v77, v11 dst_sel:DWORD dst_unused:UNUSED_PAD src0_sel:WORD_1 src1_sel:DWORD
	v_cndmask_b32_e64 v0, 0, 1, s0
	v_cmp_gt_i32_e64 s0, 1, v12
	v_fmac_f16_e32 v7, v77, v1
	v_mul_f16_sdwa v1, v77, v1 dst_sel:DWORD dst_unused:UNUSED_PAD src0_sel:WORD_1 src1_sel:DWORD
	v_or_b32_e32 v0, v8, v0
	v_lshl_or_b32 v8, v12, 12, v2
	v_fma_f16 v1, v77, v11, -v1
	v_cndmask_b32_e64 v15, v8, v0, s0
	v_lshlrev_b32_e32 v0, v6, v14
	v_cvt_f32_f16_e32 v8, v7
	v_mad_u64_u32 v[6:7], null, s10, v38, 0
	v_and_b32_e32 v16, 7, v15
	v_cmp_ne_u32_e64 s0, v0, v13
	v_cvt_f64_f32_e32 v[8:9], v8
	v_cvt_f32_f16_e32 v1, v1
	v_cmp_eq_u32_e64 s1, 3, v16
	v_cndmask_b32_e64 v13, 0, 1, s0
	v_cmp_lt_i32_e64 s0, 5, v16
	v_mov_b32_e32 v0, v7
	v_or_b32_e32 v7, v14, v13
	v_lshrrev_b32_e32 v13, 2, v15
	s_or_b32 s0, s1, s0
	v_cndmask_b32_e64 v10, v10, v7, s2
	v_add_co_ci_u32_e64 v11, s0, 0, v13, s0
	v_cmp_ne_u32_e64 s0, 0, v2
	v_cmp_eq_u32_e64 s2, 0x40f, v12
	v_and_b32_e32 v13, 7, v10
	v_cndmask_b32_e64 v2, 0, 1, s0
	v_cmp_gt_i32_e64 s0, 31, v12
	v_mul_f64 v[7:8], v[8:9], s[4:5]
	v_cmp_eq_u32_e64 s1, 3, v13
	v_lshrrev_b32_e32 v12, 2, v10
	v_cndmask_b32_e64 v9, 0x7c00, v11, s0
	v_lshl_or_b32 v11, v2, 9, 0x7c00
	v_cvt_f64_f32_e32 v[1:2], v1
	v_cmp_lt_i32_e64 s0, 5, v13
	v_lshrrev_b32_e32 v13, 16, v3
	v_cndmask_b32_e64 v11, v9, v11, s2
	ds_read2_b32 v[9:10], v64 offset0:50 offset1:75
	s_or_b32 s0, s1, s0
	v_add_co_ci_u32_e64 v12, s0, 0, v12, s0
	v_cmp_ne_u32_e64 s0, 0, v4
	v_and_or_b32 v13, 0x8000, v13, v11
	v_cndmask_b32_e64 v14, 0, 1, s0
	v_cmp_gt_i32_e64 s0, 31, v17
	v_and_or_b32 v7, 0x1ff, v8, v7
	v_bfe_u32 v15, v8, 20, 11
	v_and_b32_e32 v13, 0xffff, v13
	v_lshl_or_b32 v14, v14, 9, 0x7c00
	v_mad_u64_u32 v[3:4], null, s11, v38, v[0:1]
	v_cndmask_b32_e64 v4, 0x7c00, v12, s0
	v_cmp_eq_u32_e64 s0, 0x40f, v17
	v_mul_f64 v[0:1], v[1:2], s[4:5]
	v_mad_u64_u32 v[11:12], null, s8, v75, 0
	s_waitcnt lgkmcnt(0)
	v_lshrrev_b32_e32 v16, 16, v9
	v_cndmask_b32_e64 v14, v4, v14, s0
	v_cmp_ne_u32_e64 s0, 0, v7
	v_lshrrev_b32_e32 v7, 8, v8
	v_lshrrev_b32_e32 v17, 16, v5
	;; [unrolled: 1-line block ×3, first 2 shown]
	v_mov_b32_e32 v2, v12
	v_cndmask_b32_e64 v4, 0, 1, s0
	v_mul_f16_sdwa v12, v76, v16 dst_sel:DWORD dst_unused:UNUSED_PAD src0_sel:WORD_1 src1_sel:DWORD
	v_and_or_b32 v18, 0xffe, v7, v4
	v_sub_nc_u32_e32 v7, 0x3f1, v15
	v_mad_u64_u32 v[4:5], null, s9, v75, v[2:3]
	v_fmac_f16_e32 v12, v76, v9
	v_or_b32_e32 v2, 0x1000, v18
	v_med3_i32 v5, v7, 0, 13
	v_and_or_b32 v0, 0x1ff, v1, v0
	v_mov_b32_e32 v7, v3
	v_and_or_b32 v3, 0x8000, v17, v14
	v_cvt_f32_f16_e32 v17, v12
	v_lshrrev_b32_e32 v14, v5, v2
	v_cmp_ne_u32_e64 s0, 0, v0
	v_mov_b32_e32 v12, v4
	v_lshl_or_b32 v13, v3, 16, v13
	v_bfe_u32 v19, v1, 20, 11
	v_lshlrev_b32_e32 v3, v5, v14
	v_cvt_f64_f32_e32 v[4:5], v17
	v_cndmask_b32_e64 v0, 0, 1, s0
	v_lshrrev_b32_e32 v17, 8, v1
	v_add_nc_u32_e32 v15, 0xfffffc10, v15
	v_cmp_ne_u32_e64 s0, v3, v2
	v_lshlrev_b64 v[2:3], 2, v[6:7]
	v_lshlrev_b64 v[6:7], 2, v[11:12]
	v_and_or_b32 v0, 0xffe, v17, v0
	v_sub_nc_u32_e32 v17, 0x3f1, v19
	v_cndmask_b32_e64 v20, 0, 1, s0
	v_mul_f16_sdwa v9, v76, v9 dst_sel:DWORD dst_unused:UNUSED_PAD src0_sel:WORD_1 src1_sel:DWORD
	v_add_co_u32 v2, s0, s6, v2
	v_or_b32_e32 v21, 0x1000, v0
	v_med3_i32 v17, v17, 0, 13
	v_add_co_ci_u32_e64 v3, s0, s7, v3, s0
	v_or_b32_e32 v14, v14, v20
	v_lshl_or_b32 v20, v15, 12, v18
	v_lshrrev_b32_e32 v22, v17, v21
	v_cmp_gt_i32_e64 s0, 1, v15
	v_fma_f16 v9, v76, v16, -v9
	v_mul_f64 v[4:5], v[4:5], s[4:5]
	v_add_nc_u32_e32 v16, 0xfffffc10, v19
	v_lshlrev_b32_e32 v12, v17, v22
	v_cndmask_b32_e64 v11, v20, v14, s0
	v_add_co_u32 v6, s0, v2, v6
	v_add_co_ci_u32_e64 v7, s0, v3, v7, s0
	v_cmp_ne_u32_e64 s0, v12, v21
	v_and_b32_e32 v14, 7, v11
	v_cvt_f32_f16_e32 v9, v9
	global_store_dword v[6:7], v13, off
	v_lshl_or_b32 v17, v16, 12, v0
	v_cndmask_b32_e64 v12, 0, 1, s0
	v_cmp_lt_i32_e64 s0, 5, v14
	v_cmp_eq_u32_e64 s1, 3, v14
	v_lshrrev_b32_e32 v14, 2, v11
	v_cmp_gt_i32_e64 s2, 1, v16
	v_or_b32_e32 v13, v22, v12
	v_cvt_f64_f32_e32 v[11:12], v9
	s_or_b32 s0, s1, s0
	v_and_or_b32 v4, 0x1ff, v5, v4
	v_cndmask_b32_e64 v9, v17, v13, s2
	v_add_co_ci_u32_e64 v13, s0, 0, v14, s0
	v_cmp_ne_u32_e64 s0, 0, v18
	v_lshrrev_b32_e32 v18, 8, v5
	v_and_b32_e32 v17, 7, v9
	v_lshrrev_b32_e32 v9, 2, v9
	v_bfe_u32 v19, v5, 20, 11
	v_cndmask_b32_e64 v14, 0, 1, s0
	v_cmp_ne_u32_e64 s0, 0, v4
	v_cmp_eq_u32_e64 s1, 3, v17
	s_mul_i32 s2, s9, 25
	v_lshl_or_b32 v14, v14, 9, 0x7c00
	v_cndmask_b32_e64 v4, 0, 1, s0
	v_cmp_gt_i32_e64 s0, 31, v15
	s_add_i32 s3, s3, s2
	s_mul_i32 s2, s8, 25
	v_mul_f64 v[11:12], v[11:12], s[4:5]
	v_and_or_b32 v4, 0xffe, v18, v4
	v_cndmask_b32_e64 v13, 0x7c00, v13, s0
	v_cmp_lt_i32_e64 s0, 5, v17
	v_sub_nc_u32_e32 v18, 0x3f1, v19
	s_lshl_b64 s[6:7], s[2:3], 2
	v_or_b32_e32 v17, 0x1000, v4
	s_or_b32 s0, s1, s0
	v_med3_i32 v18, v18, 0, 13
	v_add_co_ci_u32_e64 v9, s0, 0, v9, s0
	v_cmp_ne_u32_e64 s0, 0, v0
	v_lshrrev_b32_e32 v20, v18, v17
	v_cndmask_b32_e64 v0, 0, 1, s0
	v_cmp_eq_u32_e64 s0, 0x40f, v15
	v_lshrrev_b32_e32 v15, 16, v10
	v_lshl_or_b32 v0, v0, 9, 0x7c00
	v_cndmask_b32_e64 v13, v13, v14, s0
	v_cmp_gt_i32_e64 s0, 31, v16
	v_lshlrev_b32_e32 v14, v18, v20
	v_and_or_b32 v11, 0x1ff, v12, v11
	v_lshrrev_b32_e32 v18, 8, v12
	v_and_or_b32 v13, 0x8000, v8, v13
	v_cndmask_b32_e64 v9, 0x7c00, v9, s0
	v_cmp_eq_u32_e64 s0, 0x40f, v16
	v_mul_f16_sdwa v16, v74, v15 dst_sel:DWORD dst_unused:UNUSED_PAD src0_sel:WORD_1 src1_sel:DWORD
	v_and_b32_e32 v13, 0xffff, v13
	v_cndmask_b32_e64 v9, v9, v0, s0
	v_cmp_ne_u32_e64 s0, v14, v17
	v_add_nc_u32_e32 v14, 0xfffffc10, v19
	v_fmac_f16_e32 v16, v74, v10
	v_bfe_u32 v19, v12, 20, 11
	v_lshrrev_b32_e32 v17, 16, v1
	v_cndmask_b32_e64 v0, 0, 1, s0
	v_cmp_ne_u32_e64 s0, 0, v11
	v_lshl_or_b32 v1, v14, 12, v4
	v_cvt_f32_f16_e32 v16, v16
	v_mul_f16_sdwa v10, v74, v10 dst_sel:DWORD dst_unused:UNUSED_PAD src0_sel:WORD_1 src1_sel:DWORD
	v_or_b32_e32 v0, v20, v0
	v_cndmask_b32_e64 v11, 0, 1, s0
	v_cmp_gt_i32_e64 s0, 1, v14
	v_lshrrev_b32_e32 v12, 16, v12
	v_fma_f16 v10, v74, v15, -v10
	v_and_or_b32 v11, 0xffe, v18, v11
	v_sub_nc_u32_e32 v18, 0x3f1, v19
	v_cndmask_b32_e64 v20, v1, v0, s0
	v_cvt_f64_f32_e32 v[0:1], v16
	v_and_or_b32 v16, 0x8000, v17, v9
	v_or_b32_e32 v9, 0x1000, v11
	v_med3_i32 v17, v18, 0, 13
	v_and_b32_e32 v8, 7, v20
	v_lshl_or_b32 v16, v16, 16, v13
	v_lshrrev_b32_e32 v18, v17, v9
	v_cmp_lt_i32_e64 s0, 5, v8
	v_cmp_eq_u32_e64 s1, 3, v8
	v_lshrrev_b32_e32 v8, 2, v20
	v_lshlrev_b32_e32 v15, v17, v18
	s_or_b32 s0, s1, s0
	v_add_co_ci_u32_e64 v17, s0, 0, v8, s0
	v_cmp_ne_u32_e64 s0, v15, v9
	v_cvt_f32_f16_e32 v8, v10
	v_add_nc_u32_e32 v15, 0xfffffc10, v19
	v_mul_f64 v[0:1], v[0:1], s[4:5]
	v_cndmask_b32_e64 v10, 0, 1, s0
	v_cmp_ne_u32_e64 s0, 0, v4
	v_cvt_f64_f32_e32 v[8:9], v8
	v_or_b32_e32 v10, v18, v10
	v_cndmask_b32_e64 v4, 0, 1, s0
	v_cmp_gt_i32_e64 s0, 31, v14
	v_lshl_or_b32 v18, v15, 12, v11
	v_lshl_or_b32 v4, v4, 9, 0x7c00
	v_cndmask_b32_e64 v17, 0x7c00, v17, s0
	v_cmp_gt_i32_e64 s0, 1, v15
	v_cndmask_b32_e64 v10, v18, v10, s0
	v_cmp_eq_u32_e64 s0, 0x40f, v14
	v_and_or_b32 v0, 0x1ff, v1, v0
	v_and_b32_e32 v18, 7, v10
	v_cndmask_b32_e64 v14, v17, v4, s0
	v_lshrrev_b32_e32 v17, 16, v5
	ds_read2_b32 v[4:5], v64 offset0:100 offset1:125
	v_mul_f64 v[8:9], v[8:9], s[4:5]
	v_cmp_ne_u32_e64 s2, 0, v0
	v_cmp_lt_i32_e64 s0, 5, v18
	v_cmp_eq_u32_e64 s1, 3, v18
	v_lshrrev_b32_e32 v10, 2, v10
	v_and_or_b32 v13, 0x8000, v17, v14
	v_cndmask_b32_e64 v0, 0, 1, s2
	v_lshrrev_b32_e32 v14, 8, v1
	v_bfe_u32 v17, v1, 20, 11
	s_or_b32 s0, s1, s0
	v_and_b32_e32 v13, 0xffff, v13
	v_add_co_ci_u32_e64 v10, s0, 0, v10, s0
	v_and_or_b32 v0, 0xffe, v14, v0
	v_sub_nc_u32_e32 v14, 0x3f1, v17
	v_cmp_ne_u32_e64 s0, 0, v11
	v_add_nc_u32_e32 v17, 0xfffffc10, v17
	v_or_b32_e32 v19, 0x1000, v0
	s_waitcnt lgkmcnt(0)
	v_lshrrev_b32_e32 v18, 16, v4
	v_cndmask_b32_e64 v11, 0, 1, s0
	v_med3_i32 v14, v14, 0, 13
	v_cmp_gt_i32_e64 s0, 31, v15
	v_and_or_b32 v8, 0x1ff, v9, v8
	v_mul_f16_sdwa v20, v73, v18 dst_sel:DWORD dst_unused:UNUSED_PAD src0_sel:WORD_1 src1_sel:DWORD
	v_lshl_or_b32 v11, v11, 9, 0x7c00
	v_lshrrev_b32_e32 v21, v14, v19
	v_cndmask_b32_e64 v10, 0x7c00, v10, s0
	v_cmp_eq_u32_e64 s0, 0x40f, v15
	v_fmac_f16_e32 v20, v73, v4
	v_bfe_u32 v22, v9, 20, 11
	v_lshlrev_b32_e32 v14, v14, v21
	v_mul_f16_sdwa v4, v73, v4 dst_sel:DWORD dst_unused:UNUSED_PAD src0_sel:WORD_1 src1_sel:DWORD
	v_cndmask_b32_e64 v15, v10, v11, s0
	v_cmp_ne_u32_e64 s0, 0, v8
	v_cvt_f32_f16_e32 v10, v20
	v_lshrrev_b32_e32 v20, 8, v9
	v_fma_f16 v4, v73, v18, -v4
	v_and_or_b32 v12, 0x8000, v12, v15
	v_cndmask_b32_e64 v8, 0, 1, s0
	v_cmp_ne_u32_e64 s0, v14, v19
	v_cvt_f64_f32_e32 v[10:11], v10
	v_sub_nc_u32_e32 v19, 0x3f1, v22
	v_cvt_f32_f16_e32 v4, v4
	v_and_or_b32 v8, 0xffe, v20, v8
	v_cndmask_b32_e64 v14, 0, 1, s0
	v_lshl_or_b32 v20, v17, 12, v0
	v_med3_i32 v19, v19, 0, 13
	v_cmp_gt_i32_e64 s0, 1, v17
	v_or_b32_e32 v14, v21, v14
	v_or_b32_e32 v21, 0x1000, v8
	v_cndmask_b32_e64 v14, v20, v14, s0
	v_lshrrev_b32_e32 v15, v19, v21
	v_add_co_u32 v6, s0, v6, s6
	v_add_co_ci_u32_e64 v7, s0, s7, v7, s0
	v_lshlrev_b32_e32 v19, v19, v15
	v_and_b32_e32 v23, 7, v14
	v_mul_f64 v[10:11], v[10:11], s[4:5]
	v_lshl_or_b32 v20, v12, 16, v13
	v_add_co_u32 v12, s0, v6, s6
	v_cmp_ne_u32_e64 s1, v19, v21
	v_add_co_ci_u32_e64 v13, s0, s7, v7, s0
	v_cmp_lt_i32_e64 s0, 5, v23
	v_lshrrev_b32_e32 v21, 2, v14
	v_cndmask_b32_e64 v18, 0, 1, s1
	v_cmp_eq_u32_e64 s1, 3, v23
	v_add_nc_u32_e32 v19, 0xfffffc10, v22
	global_store_dword v[6:7], v16, off
	global_store_dword v[12:13], v20, off
	v_or_b32_e32 v18, v15, v18
	s_or_b32 s0, s1, s0
	v_cvt_f64_f32_e32 v[14:15], v4
	v_add_co_ci_u32_e64 v4, s0, 0, v21, s0
	v_cmp_ne_u32_e64 s0, 0, v0
	v_lshl_or_b32 v22, v19, 12, v8
	v_and_or_b32 v10, 0x1ff, v11, v10
	v_bfe_u32 v23, v11, 20, 11
	v_cndmask_b32_e64 v0, 0, 1, s0
	v_cmp_gt_i32_e64 s0, 1, v19
	v_lshl_or_b32 v0, v0, 9, 0x7c00
	v_cndmask_b32_e64 v18, v22, v18, s0
	v_cmp_gt_i32_e64 s0, 31, v17
	v_lshrrev_b32_e32 v22, 8, v11
	v_lshrrev_b32_e32 v11, 16, v11
	v_and_b32_e32 v21, 7, v18
	v_cndmask_b32_e64 v4, 0x7c00, v4, s0
	v_cmp_ne_u32_e64 s0, 0, v10
	v_cmp_eq_u32_e64 s1, 3, v21
	v_cndmask_b32_e64 v10, 0, 1, s0
	v_cmp_eq_u32_e64 s0, 0x40f, v17
	v_lshrrev_b32_e32 v17, 16, v1
	v_and_or_b32 v10, 0xffe, v22, v10
	v_cndmask_b32_e64 v4, v4, v0, s0
	v_cmp_lt_i32_e64 s0, 5, v21
	v_mul_f64 v[0:1], v[14:15], s[4:5]
	v_lshrrev_b32_e32 v15, 2, v18
	v_sub_nc_u32_e32 v22, 0x3f1, v23
	v_or_b32_e32 v18, 0x1000, v10
	s_or_b32 s0, s1, s0
	v_lshrrev_b32_e32 v14, 16, v5
	v_add_co_ci_u32_e64 v15, s0, 0, v15, s0
	v_med3_i32 v21, v22, 0, 13
	v_cmp_ne_u32_e64 s0, 0, v8
	v_mul_f16_sdwa v22, v72, v14 dst_sel:DWORD dst_unused:UNUSED_PAD src0_sel:WORD_1 src1_sel:DWORD
	v_and_or_b32 v4, 0x8000, v17, v4
	v_lshrrev_b32_e32 v24, v21, v18
	v_cndmask_b32_e64 v8, 0, 1, s0
	v_cmp_gt_i32_e64 s0, 31, v19
	v_fmac_f16_e32 v22, v72, v5
	v_and_b32_e32 v4, 0xffff, v4
	v_lshlrev_b32_e32 v17, v21, v24
	v_lshl_or_b32 v8, v8, 9, 0x7c00
	v_cndmask_b32_e64 v15, 0x7c00, v15, s0
	v_cmp_eq_u32_e64 s0, 0x40f, v19
	v_and_or_b32 v0, 0x1ff, v1, v0
	v_cvt_f32_f16_e32 v21, v22
	v_lshrrev_b32_e32 v19, 16, v9
	v_bfe_u32 v22, v1, 20, 11
	v_cndmask_b32_e64 v15, v15, v8, s0
	v_cmp_ne_u32_e64 s0, v17, v18
	v_cvt_f64_f32_e32 v[8:9], v21
	v_add_nc_u32_e32 v18, 0xfffffc10, v23
	v_lshrrev_b32_e32 v21, 8, v1
	v_and_or_b32 v15, 0x8000, v19, v15
	v_cndmask_b32_e64 v17, 0, 1, s0
	v_cmp_ne_u32_e64 s0, 0, v0
	v_lshl_or_b32 v19, v18, 12, v10
	v_lshl_or_b32 v15, v15, 16, v4
	v_or_b32_e32 v17, v24, v17
	v_cndmask_b32_e64 v0, 0, 1, s0
	v_cmp_gt_i32_e64 s0, 1, v18
	v_and_or_b32 v0, 0xffe, v21, v0
	v_sub_nc_u32_e32 v21, 0x3f1, v22
	v_cndmask_b32_e64 v17, v19, v17, s0
	v_add_co_u32 v4, s0, v12, s6
	v_or_b32_e32 v19, 0x1000, v0
	v_med3_i32 v21, v21, 0, 13
	v_and_b32_e32 v16, 7, v17
	v_mul_f64 v[6:7], v[8:9], s[4:5]
	v_mul_f16_sdwa v8, v72, v5 dst_sel:DWORD dst_unused:UNUSED_PAD src0_sel:WORD_1 src1_sel:DWORD
	v_add_co_ci_u32_e64 v5, s0, s7, v13, s0
	v_lshrrev_b32_e32 v20, v21, v19
	v_cmp_lt_i32_e64 s0, 5, v16
	v_cmp_eq_u32_e64 s1, 3, v16
	v_fma_f16 v8, v72, v14, -v8
	v_lshrrev_b32_e32 v12, 2, v17
	v_lshlrev_b32_e32 v9, v21, v20
	v_add_nc_u32_e32 v14, 0xfffffc10, v22
	s_or_b32 s0, s1, s0
	v_cvt_f32_f16_e32 v8, v8
	v_add_co_ci_u32_e64 v16, s0, 0, v12, s0
	v_cmp_ne_u32_e64 s2, v9, v19
	v_cmp_ne_u32_e64 s0, 0, v10
	v_lshl_or_b32 v19, v14, 12, v0
	ds_read2_b32 v[12:13], v64 offset0:150 offset1:175
	global_store_dword v[4:5], v15, off
	v_cndmask_b32_e64 v9, 0, 1, s2
	v_cndmask_b32_e64 v10, 0, 1, s0
	v_cmp_gt_i32_e64 s0, 1, v14
	v_and_or_b32 v6, 0x1ff, v7, v6
	v_bfe_u32 v21, v7, 20, 11
	v_or_b32_e32 v17, v20, v9
	v_cvt_f64_f32_e32 v[8:9], v8
	v_lshl_or_b32 v10, v10, 9, 0x7c00
	v_lshrrev_b32_e32 v20, 8, v7
	v_lshrrev_b32_e32 v7, 16, v7
	v_cndmask_b32_e64 v17, v19, v17, s0
	v_cmp_gt_i32_e64 s0, 31, v18
	v_and_b32_e32 v19, 7, v17
	v_cndmask_b32_e64 v16, 0x7c00, v16, s0
	v_cmp_ne_u32_e64 s0, 0, v6
	v_lshrrev_b32_e32 v17, 2, v17
	v_cmp_eq_u32_e64 s1, 3, v19
	v_cndmask_b32_e64 v6, 0, 1, s0
	v_cmp_eq_u32_e64 s0, 0x40f, v18
	s_waitcnt lgkmcnt(0)
	v_lshrrev_b32_e32 v18, 16, v12
	v_and_or_b32 v6, 0xffe, v20, v6
	v_cndmask_b32_e64 v10, v16, v10, s0
	v_cmp_lt_i32_e64 s0, 5, v19
	v_mul_f64 v[8:9], v[8:9], s[4:5]
	v_sub_nc_u32_e32 v16, 0x3f1, v21
	v_or_b32_e32 v19, 0x1000, v6
	v_mul_f16_sdwa v20, v71, v18 dst_sel:DWORD dst_unused:UNUSED_PAD src0_sel:WORD_1 src1_sel:DWORD
	s_or_b32 s0, s1, s0
	v_and_or_b32 v10, 0x8000, v11, v10
	v_add_co_ci_u32_e64 v17, s0, 0, v17, s0
	v_med3_i32 v16, v16, 0, 13
	v_cmp_ne_u32_e64 s0, 0, v0
	v_fmac_f16_e32 v20, v71, v12
	v_and_b32_e32 v10, 0xffff, v10
	v_mul_f16_sdwa v12, v71, v12 dst_sel:DWORD dst_unused:UNUSED_PAD src0_sel:WORD_1 src1_sel:DWORD
	v_lshrrev_b32_e32 v22, v16, v19
	v_cndmask_b32_e64 v0, 0, 1, s0
	v_cmp_gt_i32_e64 s0, 31, v14
	v_fma_f16 v12, v71, v18, -v12
	v_lshlrev_b32_e32 v11, v16, v22
	v_lshl_or_b32 v0, v0, 9, 0x7c00
	v_cndmask_b32_e64 v17, 0x7c00, v17, s0
	v_cmp_eq_u32_e64 s0, 0x40f, v14
	v_cvt_f32_f16_e32 v16, v20
	v_and_or_b32 v8, 0x1ff, v9, v8
	v_bfe_u32 v20, v9, 20, 11
	v_cndmask_b32_e64 v14, v17, v0, s0
	v_cmp_ne_u32_e64 s0, v11, v19
	v_lshrrev_b32_e32 v17, 16, v1
	v_cvt_f64_f32_e32 v[0:1], v16
	v_add_nc_u32_e32 v16, 0xfffffc10, v21
	v_lshrrev_b32_e32 v19, 8, v9
	v_cndmask_b32_e64 v11, 0, 1, s0
	v_cmp_ne_u32_e64 s0, 0, v8
	v_and_or_b32 v14, 0x8000, v17, v14
	v_lshl_or_b32 v17, v16, 12, v6
	v_lshrrev_b32_e32 v9, 16, v9
	v_or_b32_e32 v11, v22, v11
	v_cndmask_b32_e64 v8, 0, 1, s0
	v_cmp_gt_i32_e64 s0, 1, v16
	v_lshl_or_b32 v14, v14, 16, v10
	v_and_or_b32 v8, 0xffe, v19, v8
	v_sub_nc_u32_e32 v19, 0x3f1, v20
	v_cndmask_b32_e64 v11, v17, v11, s0
	v_add_co_u32 v4, s0, v4, s6
	v_or_b32_e32 v17, 0x1000, v8
	v_med3_i32 v19, v19, 0, 13
	v_and_b32_e32 v10, 7, v11
	v_mul_f64 v[0:1], v[0:1], s[4:5]
	v_add_co_ci_u32_e64 v5, s0, s7, v5, s0
	v_lshrrev_b32_e32 v15, v19, v17
	v_cmp_lt_i32_e64 s0, 5, v10
	v_cmp_eq_u32_e64 s1, 3, v10
	v_cvt_f32_f16_e32 v10, v12
	v_lshrrev_b32_e32 v12, 2, v11
	v_lshlrev_b32_e32 v18, v19, v15
	global_store_dword v[4:5], v14, off
	s_or_b32 s0, s1, s0
	v_cvt_f64_f32_e32 v[10:11], v10
	v_add_co_ci_u32_e64 v12, s0, 0, v12, s0
	v_cmp_ne_u32_e64 s2, v18, v17
	v_cmp_ne_u32_e64 s0, 0, v6
	v_add_nc_u32_e32 v18, 0xfffffc10, v20
	v_lshrrev_b32_e32 v20, 16, v13
	v_cndmask_b32_e64 v17, 0, 1, s2
	v_cndmask_b32_e64 v6, 0, 1, s0
	v_cmp_gt_i32_e64 s0, 31, v16
	v_and_or_b32 v0, 0x1ff, v1, v0
	v_bfe_u32 v19, v1, 20, 11
	v_or_b32_e32 v15, v15, v17
	v_lshl_or_b32 v17, v18, 12, v8
	v_cndmask_b32_e64 v12, 0x7c00, v12, s0
	v_cmp_gt_i32_e64 s0, 1, v18
	v_lshl_or_b32 v6, v6, 9, 0x7c00
	v_cndmask_b32_e64 v15, v17, v15, s0
	v_cmp_ne_u32_e64 s0, 0, v0
	v_lshrrev_b32_e32 v17, 8, v1
	v_mul_f64 v[10:11], v[10:11], s[4:5]
	v_cndmask_b32_e64 v0, 0, 1, s0
	v_cmp_eq_u32_e64 s0, 0x40f, v16
	v_sub_nc_u32_e32 v16, 0x3f1, v19
	v_add_nc_u32_e32 v19, 0xfffffc10, v19
	v_and_or_b32 v0, 0xffe, v17, v0
	v_cndmask_b32_e64 v6, v12, v6, s0
	v_and_b32_e32 v12, 7, v15
	v_med3_i32 v16, v16, 0, 13
	v_or_b32_e32 v17, 0x1000, v0
	v_cmp_lt_i32_e64 s0, 5, v12
	v_cmp_eq_u32_e64 s1, 3, v12
	v_and_or_b32 v12, 0x8000, v7, v6
	v_lshrrev_b32_e32 v6, 2, v15
	v_lshrrev_b32_e32 v15, v16, v17
	v_mul_f16_sdwa v7, v70, v20 dst_sel:DWORD dst_unused:UNUSED_PAD src0_sel:WORD_1 src1_sel:DWORD
	s_or_b32 s0, s1, s0
	v_and_or_b32 v10, 0x1ff, v11, v10
	v_add_co_ci_u32_e64 v6, s0, 0, v6, s0
	v_cmp_ne_u32_e64 s0, 0, v8
	v_lshlrev_b32_e32 v16, v16, v15
	v_fmac_f16_e32 v7, v70, v13
	v_bfe_u32 v22, v11, 20, 11
	v_mul_f16_sdwa v13, v70, v13 dst_sel:DWORD dst_unused:UNUSED_PAD src0_sel:WORD_1 src1_sel:DWORD
	v_cndmask_b32_e64 v8, 0, 1, s0
	v_cmp_gt_i32_e64 s0, 31, v18
	v_lshl_or_b32 v8, v8, 9, 0x7c00
	v_cndmask_b32_e64 v21, 0x7c00, v6, s0
	v_cmp_ne_u32_e64 s0, v16, v17
	v_cvt_f32_f16_e32 v6, v7
	v_lshrrev_b32_e32 v17, 8, v11
	v_lshrrev_b32_e32 v11, 16, v11
	v_cndmask_b32_e64 v16, 0, 1, s0
	v_cmp_ne_u32_e64 s0, 0, v10
	v_cvt_f64_f32_e32 v[6:7], v6
	v_or_b32_e32 v15, v15, v16
	v_cndmask_b32_e64 v10, 0, 1, s0
	v_cmp_eq_u32_e64 s0, 0x40f, v18
	v_lshl_or_b32 v16, v19, 12, v0
	v_and_or_b32 v10, 0xffe, v17, v10
	v_sub_nc_u32_e32 v17, 0x3f1, v22
	v_cndmask_b32_e64 v8, v21, v8, s0
	v_cmp_gt_i32_e64 s0, 1, v19
	v_or_b32_e32 v18, 0x1000, v10
	v_med3_i32 v17, v17, 0, 13
	v_and_or_b32 v8, 0x8000, v9, v8
	v_cndmask_b32_e64 v15, v16, v15, s0
	v_and_b32_e32 v9, 0xffff, v12
	v_lshrrev_b32_e32 v12, v17, v18
	v_and_b32_e32 v14, 7, v15
	v_mul_f64 v[6:7], v[6:7], s[4:5]
	v_lshl_or_b32 v16, v8, 16, v9
	v_lshlrev_b32_e32 v8, v17, v12
	v_fma_f16 v9, v70, v20, -v13
	v_cmp_lt_i32_e64 s0, 5, v14
	v_cmp_eq_u32_e64 s1, 3, v14
	v_lshrrev_b32_e32 v13, 2, v15
	v_cmp_ne_u32_e64 s2, v8, v18
	v_cvt_f32_f16_e32 v9, v9
	v_add_nc_u32_e32 v14, 0xfffffc10, v22
	s_or_b32 s0, s1, s0
	v_cndmask_b32_e64 v8, 0, 1, s2
	v_add_co_ci_u32_e64 v15, s0, 0, v13, s0
	v_cmp_ne_u32_e64 s0, 0, v0
	v_lshl_or_b32 v13, v14, 12, v10
	v_or_b32_e32 v12, v12, v8
	v_cvt_f64_f32_e32 v[8:9], v9
	v_cndmask_b32_e64 v0, 0, 1, s0
	v_cmp_gt_i32_e64 s0, 1, v14
	v_and_or_b32 v6, 0x1ff, v7, v6
	v_lshrrev_b32_e32 v20, 8, v7
	v_bfe_u32 v21, v7, 20, 11
	v_lshl_or_b32 v0, v0, 9, 0x7c00
	v_cndmask_b32_e64 v17, v13, v12, s0
	v_cmp_gt_i32_e64 s0, 31, v19
	ds_read2_b32 v[12:13], v64 offset0:200 offset1:225
	v_and_b32_e32 v18, 7, v17
	v_cndmask_b32_e64 v15, 0x7c00, v15, s0
	v_cmp_ne_u32_e64 s0, 0, v6
	v_cmp_eq_u32_e64 s1, 3, v18
	v_cndmask_b32_e64 v6, 0, 1, s0
	v_cmp_eq_u32_e64 s0, 0x40f, v19
	v_lshrrev_b32_e32 v19, 16, v1
	v_and_or_b32 v6, 0xffe, v20, v6
	v_cndmask_b32_e64 v15, v15, v0, s0
	v_cmp_lt_i32_e64 s0, 5, v18
	v_mul_f64 v[0:1], v[8:9], s[4:5]
	v_lshrrev_b32_e32 v8, 2, v17
	v_sub_nc_u32_e32 v20, 0x3f1, v21
	v_or_b32_e32 v9, 0x1000, v6
	s_or_b32 s0, s1, s0
	s_waitcnt lgkmcnt(0)
	v_lshrrev_b32_e32 v18, 16, v12
	v_add_co_ci_u32_e64 v8, s0, 0, v8, s0
	v_med3_i32 v17, v20, 0, 13
	v_cmp_ne_u32_e64 s0, 0, v10
	v_mul_f16_sdwa v22, v69, v18 dst_sel:DWORD dst_unused:UNUSED_PAD src0_sel:WORD_1 src1_sel:DWORD
	v_and_or_b32 v15, 0x8000, v19, v15
	v_lshrrev_b32_e32 v20, v17, v9
	v_cndmask_b32_e64 v10, 0, 1, s0
	v_cmp_gt_i32_e64 s0, 31, v14
	v_fmac_f16_e32 v22, v69, v12
	v_and_b32_e32 v15, 0xffff, v15
	v_lshlrev_b32_e32 v17, v17, v20
	v_lshl_or_b32 v10, v10, 9, 0x7c00
	v_cndmask_b32_e64 v8, 0x7c00, v8, s0
	v_cmp_eq_u32_e64 s0, 0x40f, v14
	v_and_or_b32 v0, 0x1ff, v1, v0
	v_lshrrev_b32_e32 v19, 8, v1
	v_mul_f16_sdwa v12, v69, v12 dst_sel:DWORD dst_unused:UNUSED_PAD src0_sel:WORD_1 src1_sel:DWORD
	v_cndmask_b32_e64 v10, v8, v10, s0
	v_cmp_ne_u32_e64 s0, v17, v9
	v_cvt_f32_f16_e32 v8, v22
	v_add_nc_u32_e32 v17, 0xfffffc10, v21
	v_bfe_u32 v21, v1, 20, 11
	v_and_or_b32 v10, 0x8000, v11, v10
	v_cndmask_b32_e64 v14, 0, 1, s0
	v_cmp_ne_u32_e64 s0, 0, v0
	v_cvt_f64_f32_e32 v[8:9], v8
	v_fma_f16 v12, v69, v18, -v12
	v_lshl_or_b32 v22, v10, 16, v15
	v_or_b32_e32 v11, v20, v14
	v_cndmask_b32_e64 v0, 0, 1, s0
	v_lshl_or_b32 v14, v17, 12, v6
	v_cmp_gt_i32_e64 s0, 1, v17
	v_add_nc_u32_e32 v18, 0xfffffc10, v21
	v_cvt_f32_f16_e32 v12, v12
	v_and_or_b32 v0, 0xffe, v19, v0
	v_sub_nc_u32_e32 v19, 0x3f1, v21
	v_cndmask_b32_e64 v14, v14, v11, s0
	v_add_co_u32 v4, s0, v4, s6
	v_or_b32_e32 v20, 0x1000, v0
	v_med3_i32 v19, v19, 0, 13
	v_add_co_ci_u32_e64 v5, s0, s7, v5, s0
	v_and_b32_e32 v15, 7, v14
	v_add_co_u32 v10, s0, v4, s6
	v_lshrrev_b32_e32 v23, v19, v20
	v_mul_f64 v[8:9], v[8:9], s[4:5]
	v_add_co_ci_u32_e64 v11, s0, s7, v5, s0
	v_cmp_lt_i32_e64 s0, 5, v15
	v_lshlrev_b32_e32 v19, v19, v23
	v_cmp_eq_u32_e64 s1, 3, v15
	v_lshrrev_b32_e32 v14, 2, v14
	v_lshl_or_b32 v21, v18, 12, v0
	v_cmp_ne_u32_e64 s2, v19, v20
	s_or_b32 s0, s1, s0
	v_add_co_ci_u32_e64 v19, s0, 0, v14, s0
	v_cndmask_b32_e64 v15, 0, 1, s2
	v_cmp_ne_u32_e64 s0, 0, v6
	v_or_b32_e32 v20, v23, v15
	v_cndmask_b32_e64 v6, 0, 1, s0
	v_cmp_gt_i32_e64 s0, 1, v18
	v_cvt_f64_f32_e32 v[14:15], v12
	v_and_or_b32 v8, 0x1ff, v9, v8
	v_bfe_u32 v23, v9, 20, 11
	v_lshl_or_b32 v6, v6, 9, 0x7c00
	v_cndmask_b32_e64 v12, v21, v20, s0
	v_cmp_gt_i32_e64 s0, 31, v17
	v_lshrrev_b32_e32 v21, 8, v9
	v_and_b32_e32 v20, 7, v12
	v_cndmask_b32_e64 v19, 0x7c00, v19, s0
	v_cmp_ne_u32_e64 s0, 0, v8
	v_lshrrev_b32_e32 v12, 2, v12
	v_cmp_eq_u32_e64 s1, 3, v20
	v_cndmask_b32_e64 v8, 0, 1, s0
	v_cmp_eq_u32_e64 s0, 0x40f, v17
	v_and_or_b32 v8, 0xffe, v21, v8
	v_cndmask_b32_e64 v17, v19, v6, s0
	v_cmp_lt_i32_e64 s0, 5, v20
	v_sub_nc_u32_e32 v6, 0x3f1, v23
	v_lshrrev_b32_e32 v20, 16, v13
	v_lshrrev_b32_e32 v19, 16, v7
	v_or_b32_e32 v21, 0x1000, v8
	s_or_b32 s0, s1, s0
	v_med3_i32 v24, v6, 0, 13
	v_mul_f64 v[6:7], v[14:15], s[4:5]
	v_add_co_ci_u32_e64 v12, s0, 0, v12, s0
	v_mul_f16_sdwa v14, v68, v20 dst_sel:DWORD dst_unused:UNUSED_PAD src0_sel:WORD_1 src1_sel:DWORD
	v_cmp_ne_u32_e64 s0, 0, v0
	v_lshrrev_b32_e32 v15, v24, v21
	v_and_or_b32 v17, 0x8000, v19, v17
	v_fmac_f16_e32 v14, v68, v13
	v_cndmask_b32_e64 v0, 0, 1, s0
	v_cmp_gt_i32_e64 s0, 31, v18
	v_lshlrev_b32_e32 v19, v24, v15
	v_and_b32_e32 v17, 0xffff, v17
	v_cvt_f32_f16_e32 v14, v14
	v_lshl_or_b32 v0, v0, 9, 0x7c00
	v_cndmask_b32_e64 v12, 0x7c00, v12, s0
	v_cmp_eq_u32_e64 s0, 0x40f, v18
	v_lshrrev_b32_e32 v18, 16, v1
	v_cndmask_b32_e64 v12, v12, v0, s0
	v_cvt_f64_f32_e32 v[0:1], v14
	v_cmp_ne_u32_e64 s0, v19, v21
	v_and_or_b32 v6, 0x1ff, v7, v6
	v_add_nc_u32_e32 v19, 0xfffffc10, v23
	v_and_or_b32 v12, 0x8000, v18, v12
	v_lshrrev_b32_e32 v18, 8, v7
	v_cndmask_b32_e64 v14, 0, 1, s0
	v_cmp_ne_u32_e64 s0, 0, v6
	v_bfe_u32 v21, v7, 20, 11
	v_lshl_or_b32 v12, v12, 16, v17
	v_or_b32_e32 v14, v15, v14
	v_cndmask_b32_e64 v6, 0, 1, s0
	v_lshl_or_b32 v15, v19, 12, v8
	v_cmp_gt_i32_e64 s0, 1, v19
	v_and_or_b32 v18, 0xffe, v18, v6
	v_sub_nc_u32_e32 v6, 0x3f1, v21
	v_cndmask_b32_e64 v17, v15, v14, s0
	v_add_co_u32 v14, s0, v10, s6
	v_mul_f64 v[0:1], v[0:1], s[4:5]
	v_or_b32_e32 v23, 0x1000, v18
	v_med3_i32 v6, v6, 0, 13
	v_add_co_ci_u32_e64 v15, s0, s7, v11, s0
	v_and_b32_e32 v24, 7, v17
	global_store_dword v[4:5], v16, off
	global_store_dword v[10:11], v22, off
	;; [unrolled: 1-line block ×3, first 2 shown]
	v_lshrrev_b32_e32 v12, v6, v23
	v_lshrrev_b32_e32 v10, 2, v17
	v_mul_f16_sdwa v5, v68, v13 dst_sel:DWORD dst_unused:UNUSED_PAD src0_sel:WORD_1 src1_sel:DWORD
	v_cmp_lt_i32_e64 s0, 5, v24
	v_cmp_eq_u32_e64 s1, 3, v24
	v_lshlrev_b32_e32 v11, v6, v12
	v_add_nc_u32_e32 v4, 0x200, v64
	v_fma_f16 v13, v68, v20, -v5
	s_or_b32 s0, s1, s0
	v_add_co_ci_u32_e64 v10, s0, 0, v10, s0
	v_cmp_ne_u32_e64 s0, v11, v23
	ds_read2_b32 v[5:6], v4 offset0:122 offset1:147
	v_and_or_b32 v0, 0x1ff, v1, v0
	v_cvt_f32_f16_e32 v11, v13
	v_add_nc_u32_e32 v13, 0xfffffc10, v21
	v_cndmask_b32_e64 v16, 0, 1, s0
	v_cmp_gt_i32_e64 s0, 31, v19
	v_lshrrev_b32_e32 v20, 8, v1
	v_bfe_u32 v21, v1, 20, 11
	v_or_b32_e32 v12, v12, v16
	v_cndmask_b32_e64 v17, 0x7c00, v10, s0
	v_cmp_ne_u32_e64 s0, 0, v0
	v_cvt_f64_f32_e32 v[10:11], v11
	v_lshl_or_b32 v16, v13, 12, v18
	v_cndmask_b32_e64 v0, 0, 1, s0
	v_cmp_ne_u32_e64 s0, 0, v8
	v_and_or_b32 v0, 0xffe, v20, v0
	v_cndmask_b32_e64 v8, 0, 1, s0
	v_cmp_gt_i32_e64 s0, 1, v13
	s_waitcnt lgkmcnt(0)
	v_lshrrev_b32_e32 v20, 16, v5
	v_or_b32_e32 v23, 0x1000, v0
	v_lshl_or_b32 v8, v8, 9, 0x7c00
	v_cndmask_b32_e64 v12, v16, v12, s0
	v_sub_nc_u32_e32 v16, 0x3f1, v21
	v_cmp_eq_u32_e64 s0, 0x40f, v19
	v_mul_f16_sdwa v24, v67, v20 dst_sel:DWORD dst_unused:UNUSED_PAD src0_sel:WORD_1 src1_sel:DWORD
	v_add_nc_u32_e32 v21, 0xfffffc10, v21
	v_and_b32_e32 v22, 7, v12
	v_med3_i32 v16, v16, 0, 13
	v_cndmask_b32_e64 v17, v17, v8, s0
	v_lshrrev_b32_e32 v8, 2, v12
	v_mul_f64 v[10:11], v[10:11], s[4:5]
	v_cmp_lt_i32_e64 s0, 5, v22
	v_cmp_eq_u32_e64 s1, 3, v22
	v_lshrrev_b32_e32 v19, v16, v23
	v_fmac_f16_e32 v24, v67, v5
	v_lshrrev_b32_e32 v22, 16, v9
	v_mul_f16_sdwa v5, v67, v5 dst_sel:DWORD dst_unused:UNUSED_PAD src0_sel:WORD_1 src1_sel:DWORD
	s_or_b32 s0, s1, s0
	v_lshlrev_b32_e32 v12, v16, v19
	v_add_co_ci_u32_e64 v16, s0, 0, v8, s0
	v_cmp_ne_u32_e64 s0, 0, v18
	v_cvt_f32_f16_e32 v9, v24
	v_fma_f16 v5, v67, v20, -v5
	v_lshrrev_b32_e32 v24, 16, v6
	v_cndmask_b32_e64 v18, 0, 1, s0
	v_cmp_ne_u32_e64 s0, v12, v23
	v_cvt_f64_f32_e32 v[8:9], v9
	v_cvt_f32_f16_e32 v5, v5
	v_lshl_or_b32 v18, v18, 9, 0x7c00
	v_cndmask_b32_e64 v12, 0, 1, s0
	v_cmp_gt_i32_e64 s0, 31, v13
	v_and_or_b32 v10, 0x1ff, v11, v10
	v_or_b32_e32 v12, v19, v12
	v_cndmask_b32_e64 v16, 0x7c00, v16, s0
	v_cmp_eq_u32_e64 s0, 0x40f, v13
	v_lshl_or_b32 v19, v21, 12, v0
	v_cndmask_b32_e64 v13, v16, v18, s0
	v_cmp_gt_i32_e64 s0, 1, v21
	v_lshrrev_b32_e32 v16, 8, v11
	v_bfe_u32 v18, v11, 20, 11
	v_cndmask_b32_e64 v12, v19, v12, s0
	v_cmp_ne_u32_e64 s0, 0, v10
	v_lshrrev_b32_e32 v19, 16, v7
	v_mul_f64 v[7:8], v[8:9], s[4:5]
	v_sub_nc_u32_e32 v9, 0x3f1, v18
	v_and_b32_e32 v23, 7, v12
	v_cndmask_b32_e64 v10, 0, 1, s0
	v_lshrrev_b32_e32 v12, 2, v12
	v_and_or_b32 v13, 0x8000, v19, v13
	v_med3_i32 v9, v9, 0, 13
	v_cmp_lt_i32_e64 s0, 5, v23
	v_and_or_b32 v16, 0xffe, v16, v10
	v_and_or_b32 v10, 0x8000, v22, v17
	v_cmp_eq_u32_e64 s1, 3, v23
	v_or_b32_e32 v17, 0x1000, v16
	v_and_b32_e32 v10, 0xffff, v10
	s_or_b32 s0, s1, s0
	v_add_co_ci_u32_e64 v12, s0, 0, v12, s0
	v_lshrrev_b32_e32 v19, v9, v17
	v_cmp_gt_i32_e64 s0, 31, v21
	v_lshl_or_b32 v20, v13, 16, v10
	v_and_or_b32 v7, 0x1ff, v8, v7
	v_lshlrev_b32_e32 v9, v9, v19
	v_cndmask_b32_e64 v12, 0x7c00, v12, s0
	v_cmp_ne_u32_e64 s0, v9, v17
	v_cvt_f64_f32_e32 v[9:10], v5
	v_add_nc_u32_e32 v5, 0xfffffc10, v18
	v_lshrrev_b32_e32 v17, 8, v8
	v_bfe_u32 v18, v8, 20, 11
	v_cndmask_b32_e64 v13, 0, 1, s0
	v_cmp_ne_u32_e64 s0, 0, v7
	v_or_b32_e32 v13, v19, v13
	v_cndmask_b32_e64 v7, 0, 1, s0
	v_cmp_ne_u32_e64 s0, 0, v0
	v_lshl_or_b32 v19, v5, 12, v16
	v_and_or_b32 v7, 0xffe, v17, v7
	v_cndmask_b32_e64 v0, 0, 1, s0
	v_cmp_gt_i32_e64 s0, 1, v5
	v_sub_nc_u32_e32 v17, 0x3f1, v18
	v_lshl_or_b32 v0, v0, 9, 0x7c00
	v_cndmask_b32_e64 v13, v19, v13, s0
	v_cmp_eq_u32_e64 s0, 0x40f, v21
	v_or_b32_e32 v19, 0x1000, v7
	v_med3_i32 v17, v17, 0, 13
	v_lshrrev_b32_e32 v21, 16, v1
	v_and_b32_e32 v22, 7, v13
	v_cndmask_b32_e64 v12, v12, v0, s0
	v_mul_f64 v[0:1], v[9:10], s[4:5]
	v_lshrrev_b32_e32 v23, v17, v19
	v_add_co_u32 v9, s0, v14, s6
	v_add_co_ci_u32_e64 v10, s0, s7, v15, s0
	v_mul_f16_sdwa v14, v66, v24 dst_sel:DWORD dst_unused:UNUSED_PAD src0_sel:WORD_1 src1_sel:DWORD
	v_and_or_b32 v15, 0x8000, v21, v12
	v_lshlrev_b32_e32 v12, v17, v23
	v_cmp_lt_i32_e64 s0, 5, v22
	v_cmp_eq_u32_e64 s1, 3, v22
	v_lshrrev_b32_e32 v13, 2, v13
	v_fmac_f16_e32 v14, v66, v6
	v_cmp_ne_u32_e64 s2, v12, v19
	v_add_nc_u32_e32 v17, 0xfffffc10, v18
	s_or_b32 s0, s1, s0
	v_and_b32_e32 v15, 0xffff, v15
	v_add_co_ci_u32_e64 v18, s0, 0, v13, s0
	v_cndmask_b32_e64 v12, 0, 1, s2
	v_cvt_f32_f16_e32 v14, v14
	v_cmp_ne_u32_e64 s0, 0, v16
	v_and_or_b32 v0, 0x1ff, v1, v0
	v_bfe_u32 v21, v1, 20, 11
	v_or_b32_e32 v19, v23, v12
	v_cvt_f64_f32_e32 v[12:13], v14
	v_lshl_or_b32 v14, v17, 12, v7
	v_cndmask_b32_e64 v16, 0, 1, s0
	v_cmp_gt_i32_e64 s0, 1, v17
	v_mul_f16_sdwa v6, v66, v6 dst_sel:DWORD dst_unused:UNUSED_PAD src0_sel:WORD_1 src1_sel:DWORD
	v_lshl_or_b32 v16, v16, 9, 0x7c00
	v_cndmask_b32_e64 v14, v14, v19, s0
	v_cmp_ne_u32_e64 s0, 0, v0
	v_lshrrev_b32_e32 v19, 8, v1
	v_fma_f16 v6, v66, v24, -v6
	v_and_b32_e32 v22, 7, v14
	v_cndmask_b32_e64 v0, 0, 1, s0
	v_cmp_gt_i32_e64 s0, 31, v5
	v_lshrrev_b32_e32 v14, 2, v14
	v_cmp_eq_u32_e64 s1, 3, v22
	v_and_or_b32 v0, 0xffe, v19, v0
	v_cndmask_b32_e64 v18, 0x7c00, v18, s0
	v_cmp_eq_u32_e64 s0, 0x40f, v5
	v_or_b32_e32 v19, 0x1000, v0
	v_cndmask_b32_e64 v5, v18, v16, s0
	v_sub_nc_u32_e32 v16, 0x3f1, v21
	v_cmp_lt_i32_e64 s0, 5, v22
	v_lshrrev_b32_e32 v18, 16, v11
	v_mul_f64 v[11:12], v[12:13], s[4:5]
	v_med3_i32 v13, v16, 0, 13
	s_or_b32 s0, s1, s0
	v_and_or_b32 v5, 0x8000, v18, v5
	v_add_co_ci_u32_e64 v14, s0, 0, v14, s0
	v_lshrrev_b32_e32 v16, v13, v19
	v_cmp_ne_u32_e64 s0, 0, v7
	v_lshl_or_b32 v15, v5, 16, v15
	ds_read_b32 v18, v64 offset:1200
	v_lshlrev_b32_e32 v5, v13, v16
	v_cndmask_b32_e64 v7, 0, 1, s0
	v_cmp_gt_i32_e64 s0, 31, v17
	v_lshl_or_b32 v7, v7, 9, 0x7c00
	v_cndmask_b32_e64 v13, 0x7c00, v14, s0
	v_cmp_ne_u32_e64 s0, v5, v19
	v_add_nc_u32_e32 v19, 0xfffffc10, v21
	v_and_or_b32 v11, 0x1ff, v12, v11
	v_lshrrev_b32_e32 v21, 16, v8
	v_cndmask_b32_e64 v5, 0, 1, s0
	v_cmp_eq_u32_e64 s0, 0x40f, v17
	v_lshl_or_b32 v14, v19, 12, v0
	v_bfe_u32 v17, v12, 20, 11
	v_cndmask_b32_e64 v13, v13, v7, s0
	v_cmp_ne_u32_e64 s0, 0, v11
	v_or_b32_e32 v7, v16, v5
	v_cvt_f32_f16_e32 v5, v6
	v_lshrrev_b32_e32 v16, 8, v12
	v_and_or_b32 v21, 0x8000, v21, v13
	v_cndmask_b32_e64 v11, 0, 1, s0
	v_cmp_gt_i32_e64 s0, 1, v19
	v_cvt_f64_f32_e32 v[5:6], v5
	v_lshrrev_b32_e32 v12, 16, v12
	v_and_or_b32 v11, 0xffe, v16, v11
	v_cndmask_b32_e64 v14, v14, v7, s0
	v_sub_nc_u32_e32 v7, 0x3f1, v17
	s_waitcnt lgkmcnt(0)
	v_lshrrev_b32_e32 v16, 16, v18
	v_add_nc_u32_e32 v17, 0xfffffc10, v17
	v_or_b32_e32 v23, 0x1000, v11
	v_and_b32_e32 v22, 7, v14
	v_med3_i32 v24, v7, 0, 13
	v_mul_f16_sdwa v25, v65, v16 dst_sel:DWORD dst_unused:UNUSED_PAD src0_sel:WORD_1 src1_sel:DWORD
	v_add_co_u32 v7, s0, v9, s6
	v_add_co_ci_u32_e64 v8, s0, s7, v10, s0
	v_lshrrev_b32_e32 v26, v24, v23
	v_fmac_f16_e32 v25, v65, v18
	v_cmp_lt_i32_e64 s0, 5, v22
	v_cmp_eq_u32_e64 s1, 3, v22
	v_lshrrev_b32_e32 v13, 2, v14
	v_lshlrev_b32_e32 v22, v24, v26
	v_cvt_f32_f16_e32 v14, v25
	v_mul_f64 v[5:6], v[5:6], s[4:5]
	s_or_b32 s0, s1, s0
	v_mul_f16_sdwa v18, v65, v18 dst_sel:DWORD dst_unused:UNUSED_PAD src0_sel:WORD_1 src1_sel:DWORD
	v_add_co_ci_u32_e64 v24, s0, 0, v13, s0
	v_cmp_ne_u32_e64 s0, v22, v23
	v_cvt_f64_f32_e32 v[13:14], v14
	v_lshl_or_b32 v23, v17, 12, v11
	v_fma_f16 v16, v65, v16, -v18
	v_cndmask_b32_e64 v22, 0, 1, s0
	v_cmp_ne_u32_e64 s0, 0, v0
	v_cvt_f32_f16_e32 v16, v16
	v_or_b32_e32 v22, v26, v22
	v_cndmask_b32_e64 v0, 0, 1, s0
	v_cmp_gt_i32_e64 s0, 31, v19
	v_lshl_or_b32 v0, v0, 9, 0x7c00
	v_cndmask_b32_e64 v18, 0x7c00, v24, s0
	v_cmp_gt_i32_e64 s0, 1, v17
	v_and_or_b32 v5, 0x1ff, v6, v5
	v_bfe_u32 v24, v6, 20, 11
	v_cndmask_b32_e64 v22, v23, v22, s0
	v_cmp_eq_u32_e64 s0, 0x40f, v19
	v_mul_f64 v[13:14], v[13:14], s[4:5]
	v_lshrrev_b32_e32 v19, 16, v1
	v_lshrrev_b32_e32 v23, 8, v6
	v_lshrrev_b32_e32 v6, 16, v6
	v_cndmask_b32_e64 v18, v18, v0, s0
	v_cvt_f64_f32_e32 v[0:1], v16
	v_cmp_ne_u32_e64 s0, 0, v5
	v_and_b32_e32 v16, 7, v22
	v_and_or_b32 v18, 0x8000, v19, v18
	v_and_b32_e32 v19, 0xffff, v21
	v_cndmask_b32_e64 v5, 0, 1, s0
	v_cmp_lt_i32_e64 s0, 5, v16
	v_cmp_eq_u32_e64 s1, 3, v16
	v_sub_nc_u32_e32 v21, 0x3f1, v24
	v_lshl_or_b32 v16, v18, 16, v19
	v_lshrrev_b32_e32 v18, 2, v22
	v_and_or_b32 v5, 0xffe, v23, v5
	s_or_b32 s0, s1, s0
	v_med3_i32 v21, v21, 0, 13
	v_add_co_ci_u32_e64 v18, s0, 0, v18, s0
	v_or_b32_e32 v19, 0x1000, v5
	v_cmp_ne_u32_e64 s0, 0, v11
	v_and_or_b32 v13, 0x1ff, v14, v13
	v_lshrrev_b32_e32 v23, 8, v14
	v_mul_f64 v[0:1], v[0:1], s[4:5]
	v_lshrrev_b32_e32 v22, v21, v19
	v_cndmask_b32_e64 v11, 0, 1, s0
	v_cmp_gt_i32_e64 s0, 31, v17
	v_bfe_u32 v25, v14, 20, 11
	v_lshrrev_b32_e32 v14, 16, v14
	v_lshlrev_b32_e32 v21, v21, v22
	v_lshl_or_b32 v11, v11, 9, 0x7c00
	v_cndmask_b32_e64 v18, 0x7c00, v18, s0
	v_cmp_ne_u32_e64 s0, 0, v13
	v_cndmask_b32_e64 v13, 0, 1, s0
	v_cmp_ne_u32_e64 s0, v21, v19
	v_add_nc_u32_e32 v21, 0xfffffc10, v24
	v_and_or_b32 v13, 0xffe, v23, v13
	v_cndmask_b32_e64 v19, 0, 1, s0
	v_sub_nc_u32_e32 v23, 0x3f1, v25
	v_cmp_eq_u32_e64 s0, 0x40f, v17
	v_and_or_b32 v0, 0x1ff, v1, v0
	v_bfe_u32 v24, v1, 20, 11
	v_or_b32_e32 v17, v22, v19
	v_or_b32_e32 v19, 0x1000, v13
	v_cndmask_b32_e64 v11, v18, v11, s0
	v_lshl_or_b32 v18, v21, 12, v5
	v_med3_i32 v22, v23, 0, 13
	v_cmp_gt_i32_e64 s0, 1, v21
	v_lshrrev_b32_e32 v23, 8, v1
	v_and_or_b32 v11, 0x8000, v12, v11
	v_sub_nc_u32_e32 v12, 0x3f1, v24
	v_lshrrev_b32_e32 v1, 16, v1
	v_cndmask_b32_e64 v17, v18, v17, s0
	v_lshrrev_b32_e32 v18, v22, v19
	v_cmp_ne_u32_e64 s0, 0, v0
	v_med3_i32 v12, v12, 0, 13
	v_and_b32_e32 v11, 0xffff, v11
	v_and_b32_e32 v26, 7, v17
	v_lshlrev_b32_e32 v22, v22, v18
	v_cndmask_b32_e64 v0, 0, 1, s0
	v_lshrrev_b32_e32 v17, 2, v17
	v_cmp_lt_i32_e64 s0, 5, v26
	v_cmp_ne_u32_e64 s1, v22, v19
	v_and_or_b32 v0, 0xffe, v23, v0
	v_add_nc_u32_e32 v23, 0xfffffc10, v25
	v_cndmask_b32_e64 v19, 0, 1, s1
	v_cmp_eq_u32_e64 s1, 3, v26
	v_or_b32_e32 v22, 0x1000, v0
	v_lshl_or_b32 v25, v23, 12, v13
	v_or_b32_e32 v18, v18, v19
	s_or_b32 s0, s1, s0
	v_lshrrev_b32_e32 v19, v12, v22
	v_add_co_ci_u32_e64 v17, s0, 0, v17, s0
	v_cmp_gt_i32_e64 s0, 1, v23
	v_lshlrev_b32_e32 v12, v12, v19
	v_cndmask_b32_e64 v18, v25, v18, s0
	v_cmp_ne_u32_e64 s0, 0, v5
	v_cndmask_b32_e64 v5, 0, 1, s0
	v_cmp_ne_u32_e64 s0, v12, v22
	v_add_nc_u32_e32 v22, 0xfffffc10, v24
	v_and_b32_e32 v24, 7, v18
	v_lshl_or_b32 v5, v5, 9, 0x7c00
	v_cndmask_b32_e64 v12, 0, 1, s0
	v_cmp_gt_i32_e64 s0, 31, v21
	v_cmp_gt_i32_e64 s2, 1, v22
	v_cmp_eq_u32_e64 s1, 3, v24
	v_or_b32_e32 v12, v19, v12
	v_lshl_or_b32 v19, v22, 12, v0
	v_cndmask_b32_e64 v17, 0x7c00, v17, s0
	v_cmp_lt_i32_e64 s0, 5, v24
	v_cndmask_b32_e64 v12, v19, v12, s2
	v_cmp_eq_u32_e64 s2, 0x40f, v21
	s_or_b32 s0, s1, s0
	v_cndmask_b32_e64 v5, v17, v5, s2
	v_lshrrev_b32_e32 v17, 2, v18
	v_and_b32_e32 v18, 7, v12
	v_lshrrev_b32_e32 v12, 2, v12
	v_cmp_gt_i32_e64 s2, 31, v23
	v_add_co_ci_u32_e64 v17, s0, 0, v17, s0
	v_cmp_ne_u32_e64 s0, 0, v13
	v_cmp_eq_u32_e64 s1, 3, v18
	v_cndmask_b32_e64 v17, 0x7c00, v17, s2
	v_cndmask_b32_e64 v13, 0, 1, s0
	v_cmp_lt_i32_e64 s0, 5, v18
	v_lshl_or_b32 v13, v13, 9, 0x7c00
	s_or_b32 s0, s1, s0
	v_add_co_ci_u32_e64 v12, s0, 0, v12, s0
	v_cmp_ne_u32_e64 s0, 0, v0
	v_cndmask_b32_e64 v0, 0, 1, s0
	v_cmp_eq_u32_e64 s0, 0x40f, v23
	v_lshl_or_b32 v0, v0, 9, 0x7c00
	v_cndmask_b32_e64 v13, v17, v13, s0
	v_cmp_gt_i32_e64 s0, 31, v22
	v_and_or_b32 v17, 0x8000, v6, v5
	v_and_or_b32 v13, 0x8000, v14, v13
	v_cndmask_b32_e64 v12, 0x7c00, v12, s0
	v_cmp_eq_u32_e64 s0, 0x40f, v22
	v_lshl_or_b32 v14, v17, 16, v11
	v_cndmask_b32_e64 v0, v12, v0, s0
	v_add_co_u32 v5, s0, v7, s6
	v_add_co_ci_u32_e64 v6, s0, s7, v8, s0
	v_and_or_b32 v0, 0x8000, v1, v0
	v_and_b32_e32 v1, 0xffff, v13
	v_add_co_u32 v11, s0, v5, s6
	v_add_co_ci_u32_e64 v12, s0, s7, v6, s0
	v_lshl_or_b32 v13, v0, 16, v1
	v_add_co_u32 v0, s0, v11, s6
	v_add_co_ci_u32_e64 v1, s0, s7, v12, s0
	global_store_dword v[9:10], v20, off
	global_store_dword v[7:8], v15, off
	;; [unrolled: 1-line block ×5, first 2 shown]
	s_and_b32 exec_lo, exec_lo, vcc_lo
	s_cbranch_execz .LBB0_15
; %bb.14:
	global_load_dword v5, v[36:37], off offset:52
	ds_read_b32 v6, v80 offset:52
	v_mad_u64_u32 v[0:1], null, 0xfffffb84, s8, v[0:1]
	s_waitcnt lgkmcnt(0)
	v_lshrrev_b32_e32 v7, 16, v6
	s_waitcnt vmcnt(0)
	v_mul_f16_sdwa v8, v7, v5 dst_sel:DWORD dst_unused:UNUSED_PAD src0_sel:DWORD src1_sel:WORD_1
	v_mul_f16_sdwa v9, v6, v5 dst_sel:DWORD dst_unused:UNUSED_PAD src0_sel:DWORD src1_sel:WORD_1
	v_fmac_f16_e32 v8, v6, v5
	v_fma_f16 v5, v5, v7, -v9
	v_cvt_f32_f16_e32 v6, v8
	v_cvt_f32_f16_e32 v7, v5
	v_cvt_f64_f32_e32 v[5:6], v6
	v_cvt_f64_f32_e32 v[7:8], v7
	v_mul_f64 v[5:6], v[5:6], s[4:5]
	v_mul_f64 v[7:8], v[7:8], s[4:5]
	v_and_or_b32 v5, 0x1ff, v6, v5
	v_and_or_b32 v7, 0x1ff, v8, v7
	v_lshrrev_b32_e32 v9, 8, v6
	v_bfe_u32 v10, v6, 20, 11
	v_lshrrev_b32_e32 v11, 8, v8
	v_cmp_ne_u32_e32 vcc_lo, 0, v5
	v_bfe_u32 v12, v8, 20, 11
	v_lshrrev_b32_e32 v6, 16, v6
	v_sub_nc_u32_e32 v13, 0x3f1, v10
	v_add_nc_u32_e32 v10, 0xfffffc10, v10
	v_cndmask_b32_e64 v5, 0, 1, vcc_lo
	v_cmp_ne_u32_e32 vcc_lo, 0, v7
	v_lshrrev_b32_e32 v8, 16, v8
	v_and_or_b32 v5, 0xffe, v9, v5
	v_cndmask_b32_e64 v7, 0, 1, vcc_lo
	v_sub_nc_u32_e32 v9, 0x3f1, v12
	v_add_nc_u32_e32 v12, 0xfffffc10, v12
	v_and_or_b32 v7, 0xffe, v11, v7
	v_med3_i32 v11, v13, 0, 13
	v_or_b32_e32 v13, 0x1000, v5
	v_med3_i32 v9, v9, 0, 13
	v_or_b32_e32 v14, 0x1000, v7
	v_lshrrev_b32_e32 v15, v11, v13
	v_lshrrev_b32_e32 v16, v9, v14
	v_lshlrev_b32_e32 v11, v11, v15
	v_lshlrev_b32_e32 v9, v9, v16
	v_cmp_ne_u32_e32 vcc_lo, v11, v13
	v_lshl_or_b32 v13, v10, 12, v5
	v_cndmask_b32_e64 v11, 0, 1, vcc_lo
	v_cmp_ne_u32_e32 vcc_lo, v9, v14
	v_lshl_or_b32 v14, v12, 12, v7
	v_or_b32_e32 v11, v15, v11
	v_cndmask_b32_e64 v9, 0, 1, vcc_lo
	v_cmp_gt_i32_e32 vcc_lo, 1, v10
	v_or_b32_e32 v9, v16, v9
	v_cndmask_b32_e32 v11, v13, v11, vcc_lo
	v_cmp_gt_i32_e32 vcc_lo, 1, v12
	v_and_b32_e32 v13, 7, v11
	v_cndmask_b32_e32 v9, v14, v9, vcc_lo
	v_cmp_ne_u32_e32 vcc_lo, 0, v5
	v_lshrrev_b32_e32 v11, 2, v11
	v_cmp_eq_u32_e64 s0, 3, v13
	v_and_b32_e32 v14, 7, v9
	v_cndmask_b32_e64 v5, 0, 1, vcc_lo
	v_cmp_ne_u32_e32 vcc_lo, 0, v7
	v_lshrrev_b32_e32 v9, 2, v9
	v_cmp_lt_i32_e64 s1, 5, v14
	v_cmp_eq_u32_e64 s2, 3, v14
	v_cndmask_b32_e64 v7, 0, 1, vcc_lo
	v_cmp_lt_i32_e32 vcc_lo, 5, v13
	v_lshl_or_b32 v5, v5, 9, 0x7c00
	v_lshl_or_b32 v7, v7, 9, 0x7c00
	s_or_b32 vcc_lo, s0, vcc_lo
	s_mul_i32 s0, s9, 0xfffffb84
	v_add_co_ci_u32_e32 v11, vcc_lo, 0, v11, vcc_lo
	s_or_b32 vcc_lo, s2, s1
	s_sub_i32 s0, s0, s8
	v_add_co_ci_u32_e32 v9, vcc_lo, 0, v9, vcc_lo
	v_cmp_gt_i32_e32 vcc_lo, 31, v10
	v_add_nc_u32_e32 v1, s0, v1
	v_cndmask_b32_e32 v11, 0x7c00, v11, vcc_lo
	v_cmp_gt_i32_e32 vcc_lo, 31, v12
	v_cndmask_b32_e32 v9, 0x7c00, v9, vcc_lo
	v_cmp_eq_u32_e32 vcc_lo, 0x40f, v10
	v_cndmask_b32_e32 v5, v11, v5, vcc_lo
	v_cmp_eq_u32_e32 vcc_lo, 0x40f, v12
	v_and_or_b32 v5, 0x8000, v6, v5
	v_cndmask_b32_e32 v7, v9, v7, vcc_lo
	v_and_b32_e32 v5, 0xffff, v5
	v_and_or_b32 v6, 0x8000, v8, v7
	v_lshl_or_b32 v5, v6, 16, v5
	global_store_dword v[0:1], v5, off
	global_load_dword v7, v[36:37], off offset:152
	ds_read2_b32 v[5:6], v64 offset0:38 offset1:63
	s_waitcnt lgkmcnt(0)
	v_lshrrev_b32_e32 v8, 16, v5
	s_waitcnt vmcnt(0)
	v_mul_f16_sdwa v9, v8, v7 dst_sel:DWORD dst_unused:UNUSED_PAD src0_sel:DWORD src1_sel:WORD_1
	v_mul_f16_sdwa v10, v5, v7 dst_sel:DWORD dst_unused:UNUSED_PAD src0_sel:DWORD src1_sel:WORD_1
	v_fmac_f16_e32 v9, v5, v7
	v_fma_f16 v5, v7, v8, -v10
	v_cvt_f32_f16_e32 v7, v9
	v_cvt_f32_f16_e32 v5, v5
	v_cvt_f64_f32_e32 v[7:8], v7
	v_cvt_f64_f32_e32 v[9:10], v5
	v_mul_f64 v[7:8], v[7:8], s[4:5]
	v_mul_f64 v[9:10], v[9:10], s[4:5]
	v_and_or_b32 v5, 0x1ff, v8, v7
	v_and_or_b32 v9, 0x1ff, v10, v9
	v_lshrrev_b32_e32 v7, 8, v8
	v_bfe_u32 v11, v8, 20, 11
	v_lshrrev_b32_e32 v12, 8, v10
	v_cmp_ne_u32_e32 vcc_lo, 0, v5
	v_bfe_u32 v13, v10, 20, 11
	v_lshrrev_b32_e32 v8, 16, v8
	v_sub_nc_u32_e32 v14, 0x3f1, v11
	v_add_nc_u32_e32 v11, 0xfffffc10, v11
	v_cndmask_b32_e64 v5, 0, 1, vcc_lo
	v_cmp_ne_u32_e32 vcc_lo, 0, v9
	v_lshrrev_b32_e32 v10, 16, v10
	v_and_or_b32 v5, 0xffe, v7, v5
	v_cndmask_b32_e64 v9, 0, 1, vcc_lo
	v_sub_nc_u32_e32 v7, 0x3f1, v13
	v_add_nc_u32_e32 v13, 0xfffffc10, v13
	v_and_or_b32 v9, 0xffe, v12, v9
	v_med3_i32 v12, v14, 0, 13
	v_or_b32_e32 v14, 0x1000, v5
	v_med3_i32 v7, v7, 0, 13
	v_or_b32_e32 v15, 0x1000, v9
	v_lshrrev_b32_e32 v16, v12, v14
	v_lshrrev_b32_e32 v17, v7, v15
	v_lshlrev_b32_e32 v12, v12, v16
	v_lshlrev_b32_e32 v7, v7, v17
	v_cmp_ne_u32_e32 vcc_lo, v12, v14
	v_lshl_or_b32 v14, v11, 12, v5
	v_cndmask_b32_e64 v12, 0, 1, vcc_lo
	v_cmp_ne_u32_e32 vcc_lo, v7, v15
	v_lshl_or_b32 v15, v13, 12, v9
	v_or_b32_e32 v12, v16, v12
	v_cndmask_b32_e64 v7, 0, 1, vcc_lo
	v_cmp_gt_i32_e32 vcc_lo, 1, v11
	v_or_b32_e32 v7, v17, v7
	v_cndmask_b32_e32 v12, v14, v12, vcc_lo
	v_cmp_gt_i32_e32 vcc_lo, 1, v13
	v_and_b32_e32 v14, 7, v12
	v_cndmask_b32_e32 v7, v15, v7, vcc_lo
	v_cmp_ne_u32_e32 vcc_lo, 0, v5
	v_lshrrev_b32_e32 v12, 2, v12
	v_cmp_eq_u32_e64 s0, 3, v14
	v_and_b32_e32 v15, 7, v7
	v_cndmask_b32_e64 v5, 0, 1, vcc_lo
	v_cmp_ne_u32_e32 vcc_lo, 0, v9
	v_lshrrev_b32_e32 v7, 2, v7
	v_cmp_lt_i32_e64 s1, 5, v15
	v_cmp_eq_u32_e64 s2, 3, v15
	v_cndmask_b32_e64 v9, 0, 1, vcc_lo
	v_cmp_lt_i32_e32 vcc_lo, 5, v14
	v_lshl_or_b32 v5, v5, 9, 0x7c00
	v_lshl_or_b32 v9, v9, 9, 0x7c00
	s_or_b32 vcc_lo, s0, vcc_lo
	v_add_co_ci_u32_e32 v12, vcc_lo, 0, v12, vcc_lo
	s_or_b32 vcc_lo, s2, s1
	v_add_co_ci_u32_e32 v7, vcc_lo, 0, v7, vcc_lo
	v_cmp_gt_i32_e32 vcc_lo, 31, v11
	v_cndmask_b32_e32 v12, 0x7c00, v12, vcc_lo
	v_cmp_gt_i32_e32 vcc_lo, 31, v13
	v_cndmask_b32_e32 v7, 0x7c00, v7, vcc_lo
	v_cmp_eq_u32_e32 vcc_lo, 0x40f, v11
	v_cndmask_b32_e32 v5, v12, v5, vcc_lo
	v_cmp_eq_u32_e32 vcc_lo, 0x40f, v13
	v_and_or_b32 v5, 0x8000, v8, v5
	v_cndmask_b32_e32 v7, v7, v9, vcc_lo
	v_add_co_u32 v0, vcc_lo, v0, s6
	v_add_co_ci_u32_e32 v1, vcc_lo, s7, v1, vcc_lo
	v_and_or_b32 v7, 0x8000, v10, v7
	v_and_b32_e32 v5, 0xffff, v5
	v_lshl_or_b32 v5, v7, 16, v5
	v_lshrrev_b32_e32 v7, 16, v6
	global_store_dword v[0:1], v5, off
	global_load_dword v5, v[36:37], off offset:252
	s_waitcnt vmcnt(0)
	v_mul_f16_sdwa v8, v7, v5 dst_sel:DWORD dst_unused:UNUSED_PAD src0_sel:DWORD src1_sel:WORD_1
	v_mul_f16_sdwa v9, v6, v5 dst_sel:DWORD dst_unused:UNUSED_PAD src0_sel:DWORD src1_sel:WORD_1
	v_fmac_f16_e32 v8, v6, v5
	v_fma_f16 v5, v5, v7, -v9
	v_cvt_f32_f16_e32 v6, v8
	v_cvt_f32_f16_e32 v7, v5
	v_cvt_f64_f32_e32 v[5:6], v6
	v_cvt_f64_f32_e32 v[7:8], v7
	v_mul_f64 v[5:6], v[5:6], s[4:5]
	v_mul_f64 v[7:8], v[7:8], s[4:5]
	v_and_or_b32 v5, 0x1ff, v6, v5
	v_and_or_b32 v7, 0x1ff, v8, v7
	v_lshrrev_b32_e32 v9, 8, v6
	v_bfe_u32 v10, v6, 20, 11
	v_lshrrev_b32_e32 v11, 8, v8
	v_cmp_ne_u32_e32 vcc_lo, 0, v5
	v_bfe_u32 v12, v8, 20, 11
	v_lshrrev_b32_e32 v6, 16, v6
	v_sub_nc_u32_e32 v13, 0x3f1, v10
	v_add_nc_u32_e32 v10, 0xfffffc10, v10
	v_cndmask_b32_e64 v5, 0, 1, vcc_lo
	v_cmp_ne_u32_e32 vcc_lo, 0, v7
	v_lshrrev_b32_e32 v8, 16, v8
	v_and_or_b32 v5, 0xffe, v9, v5
	v_cndmask_b32_e64 v7, 0, 1, vcc_lo
	v_sub_nc_u32_e32 v9, 0x3f1, v12
	v_add_nc_u32_e32 v12, 0xfffffc10, v12
	v_and_or_b32 v7, 0xffe, v11, v7
	v_med3_i32 v11, v13, 0, 13
	v_or_b32_e32 v13, 0x1000, v5
	v_med3_i32 v9, v9, 0, 13
	v_or_b32_e32 v14, 0x1000, v7
	v_lshrrev_b32_e32 v15, v11, v13
	v_lshrrev_b32_e32 v16, v9, v14
	v_lshlrev_b32_e32 v11, v11, v15
	v_lshlrev_b32_e32 v9, v9, v16
	v_cmp_ne_u32_e32 vcc_lo, v11, v13
	v_lshl_or_b32 v13, v10, 12, v5
	v_cndmask_b32_e64 v11, 0, 1, vcc_lo
	v_cmp_ne_u32_e32 vcc_lo, v9, v14
	v_lshl_or_b32 v14, v12, 12, v7
	v_or_b32_e32 v11, v15, v11
	v_cndmask_b32_e64 v9, 0, 1, vcc_lo
	v_cmp_gt_i32_e32 vcc_lo, 1, v10
	v_or_b32_e32 v9, v16, v9
	v_cndmask_b32_e32 v11, v13, v11, vcc_lo
	v_cmp_gt_i32_e32 vcc_lo, 1, v12
	v_and_b32_e32 v13, 7, v11
	v_cndmask_b32_e32 v9, v14, v9, vcc_lo
	v_cmp_ne_u32_e32 vcc_lo, 0, v5
	v_lshrrev_b32_e32 v11, 2, v11
	v_cmp_eq_u32_e64 s0, 3, v13
	v_and_b32_e32 v14, 7, v9
	v_cndmask_b32_e64 v5, 0, 1, vcc_lo
	v_cmp_ne_u32_e32 vcc_lo, 0, v7
	v_lshrrev_b32_e32 v9, 2, v9
	v_cmp_lt_i32_e64 s1, 5, v14
	v_cmp_eq_u32_e64 s2, 3, v14
	v_cndmask_b32_e64 v7, 0, 1, vcc_lo
	v_cmp_lt_i32_e32 vcc_lo, 5, v13
	v_lshl_or_b32 v5, v5, 9, 0x7c00
	v_lshl_or_b32 v7, v7, 9, 0x7c00
	s_or_b32 vcc_lo, s0, vcc_lo
	v_add_co_ci_u32_e32 v11, vcc_lo, 0, v11, vcc_lo
	s_or_b32 vcc_lo, s2, s1
	v_add_co_ci_u32_e32 v9, vcc_lo, 0, v9, vcc_lo
	v_cmp_gt_i32_e32 vcc_lo, 31, v10
	v_cndmask_b32_e32 v11, 0x7c00, v11, vcc_lo
	v_cmp_gt_i32_e32 vcc_lo, 31, v12
	v_cndmask_b32_e32 v9, 0x7c00, v9, vcc_lo
	v_cmp_eq_u32_e32 vcc_lo, 0x40f, v10
	v_cndmask_b32_e32 v5, v11, v5, vcc_lo
	v_cmp_eq_u32_e32 vcc_lo, 0x40f, v12
	v_and_or_b32 v5, 0x8000, v6, v5
	v_cndmask_b32_e32 v7, v9, v7, vcc_lo
	v_add_co_u32 v0, vcc_lo, v0, s6
	v_add_co_ci_u32_e32 v1, vcc_lo, s7, v1, vcc_lo
	v_and_or_b32 v6, 0x8000, v8, v7
	v_and_b32_e32 v5, 0xffff, v5
	v_lshl_or_b32 v5, v6, 16, v5
	global_store_dword v[0:1], v5, off
	global_load_dword v7, v[36:37], off offset:352
	ds_read2_b32 v[5:6], v64 offset0:88 offset1:113
	s_waitcnt lgkmcnt(0)
	v_lshrrev_b32_e32 v8, 16, v5
	s_waitcnt vmcnt(0)
	v_mul_f16_sdwa v9, v8, v7 dst_sel:DWORD dst_unused:UNUSED_PAD src0_sel:DWORD src1_sel:WORD_1
	v_mul_f16_sdwa v10, v5, v7 dst_sel:DWORD dst_unused:UNUSED_PAD src0_sel:DWORD src1_sel:WORD_1
	v_fmac_f16_e32 v9, v5, v7
	v_fma_f16 v5, v7, v8, -v10
	v_cvt_f32_f16_e32 v7, v9
	v_cvt_f32_f16_e32 v5, v5
	v_cvt_f64_f32_e32 v[7:8], v7
	v_cvt_f64_f32_e32 v[9:10], v5
	v_mul_f64 v[7:8], v[7:8], s[4:5]
	v_mul_f64 v[9:10], v[9:10], s[4:5]
	v_and_or_b32 v5, 0x1ff, v8, v7
	v_and_or_b32 v9, 0x1ff, v10, v9
	v_lshrrev_b32_e32 v7, 8, v8
	v_bfe_u32 v11, v8, 20, 11
	v_lshrrev_b32_e32 v12, 8, v10
	v_cmp_ne_u32_e32 vcc_lo, 0, v5
	v_bfe_u32 v13, v10, 20, 11
	v_lshrrev_b32_e32 v8, 16, v8
	v_sub_nc_u32_e32 v14, 0x3f1, v11
	v_add_nc_u32_e32 v11, 0xfffffc10, v11
	v_cndmask_b32_e64 v5, 0, 1, vcc_lo
	v_cmp_ne_u32_e32 vcc_lo, 0, v9
	v_lshrrev_b32_e32 v10, 16, v10
	v_and_or_b32 v5, 0xffe, v7, v5
	v_cndmask_b32_e64 v9, 0, 1, vcc_lo
	v_sub_nc_u32_e32 v7, 0x3f1, v13
	v_add_nc_u32_e32 v13, 0xfffffc10, v13
	v_and_or_b32 v9, 0xffe, v12, v9
	v_med3_i32 v12, v14, 0, 13
	v_or_b32_e32 v14, 0x1000, v5
	v_med3_i32 v7, v7, 0, 13
	v_or_b32_e32 v15, 0x1000, v9
	v_lshrrev_b32_e32 v16, v12, v14
	v_lshrrev_b32_e32 v17, v7, v15
	v_lshlrev_b32_e32 v12, v12, v16
	v_lshlrev_b32_e32 v7, v7, v17
	v_cmp_ne_u32_e32 vcc_lo, v12, v14
	v_lshl_or_b32 v14, v11, 12, v5
	v_cndmask_b32_e64 v12, 0, 1, vcc_lo
	v_cmp_ne_u32_e32 vcc_lo, v7, v15
	v_lshl_or_b32 v15, v13, 12, v9
	v_or_b32_e32 v12, v16, v12
	v_cndmask_b32_e64 v7, 0, 1, vcc_lo
	v_cmp_gt_i32_e32 vcc_lo, 1, v11
	v_or_b32_e32 v7, v17, v7
	v_cndmask_b32_e32 v12, v14, v12, vcc_lo
	v_cmp_gt_i32_e32 vcc_lo, 1, v13
	v_and_b32_e32 v14, 7, v12
	v_cndmask_b32_e32 v7, v15, v7, vcc_lo
	v_cmp_ne_u32_e32 vcc_lo, 0, v5
	v_lshrrev_b32_e32 v12, 2, v12
	v_cmp_eq_u32_e64 s0, 3, v14
	v_and_b32_e32 v15, 7, v7
	v_cndmask_b32_e64 v5, 0, 1, vcc_lo
	v_cmp_ne_u32_e32 vcc_lo, 0, v9
	v_lshrrev_b32_e32 v7, 2, v7
	v_cmp_lt_i32_e64 s1, 5, v15
	v_cmp_eq_u32_e64 s2, 3, v15
	v_cndmask_b32_e64 v9, 0, 1, vcc_lo
	v_cmp_lt_i32_e32 vcc_lo, 5, v14
	v_lshl_or_b32 v5, v5, 9, 0x7c00
	v_lshl_or_b32 v9, v9, 9, 0x7c00
	s_or_b32 vcc_lo, s0, vcc_lo
	v_add_co_ci_u32_e32 v12, vcc_lo, 0, v12, vcc_lo
	s_or_b32 vcc_lo, s2, s1
	v_add_co_ci_u32_e32 v7, vcc_lo, 0, v7, vcc_lo
	v_cmp_gt_i32_e32 vcc_lo, 31, v11
	v_cndmask_b32_e32 v12, 0x7c00, v12, vcc_lo
	v_cmp_gt_i32_e32 vcc_lo, 31, v13
	v_cndmask_b32_e32 v7, 0x7c00, v7, vcc_lo
	v_cmp_eq_u32_e32 vcc_lo, 0x40f, v11
	v_cndmask_b32_e32 v5, v12, v5, vcc_lo
	v_cmp_eq_u32_e32 vcc_lo, 0x40f, v13
	v_and_or_b32 v5, 0x8000, v8, v5
	v_cndmask_b32_e32 v7, v7, v9, vcc_lo
	v_add_co_u32 v0, vcc_lo, v0, s6
	v_add_co_ci_u32_e32 v1, vcc_lo, s7, v1, vcc_lo
	v_and_or_b32 v7, 0x8000, v10, v7
	v_and_b32_e32 v5, 0xffff, v5
	v_lshl_or_b32 v5, v7, 16, v5
	v_lshrrev_b32_e32 v7, 16, v6
	global_store_dword v[0:1], v5, off
	global_load_dword v5, v[36:37], off offset:452
	s_waitcnt vmcnt(0)
	v_mul_f16_sdwa v8, v7, v5 dst_sel:DWORD dst_unused:UNUSED_PAD src0_sel:DWORD src1_sel:WORD_1
	v_mul_f16_sdwa v9, v6, v5 dst_sel:DWORD dst_unused:UNUSED_PAD src0_sel:DWORD src1_sel:WORD_1
	v_fmac_f16_e32 v8, v6, v5
	v_fma_f16 v5, v5, v7, -v9
	v_cvt_f32_f16_e32 v6, v8
	v_cvt_f32_f16_e32 v7, v5
	v_cvt_f64_f32_e32 v[5:6], v6
	v_cvt_f64_f32_e32 v[7:8], v7
	v_mul_f64 v[5:6], v[5:6], s[4:5]
	v_mul_f64 v[7:8], v[7:8], s[4:5]
	v_and_or_b32 v5, 0x1ff, v6, v5
	v_and_or_b32 v7, 0x1ff, v8, v7
	v_lshrrev_b32_e32 v9, 8, v6
	v_bfe_u32 v10, v6, 20, 11
	v_lshrrev_b32_e32 v11, 8, v8
	v_cmp_ne_u32_e32 vcc_lo, 0, v5
	v_bfe_u32 v12, v8, 20, 11
	v_lshrrev_b32_e32 v6, 16, v6
	v_sub_nc_u32_e32 v13, 0x3f1, v10
	v_add_nc_u32_e32 v10, 0xfffffc10, v10
	v_cndmask_b32_e64 v5, 0, 1, vcc_lo
	v_cmp_ne_u32_e32 vcc_lo, 0, v7
	v_lshrrev_b32_e32 v8, 16, v8
	v_and_or_b32 v5, 0xffe, v9, v5
	v_cndmask_b32_e64 v7, 0, 1, vcc_lo
	v_sub_nc_u32_e32 v9, 0x3f1, v12
	v_add_nc_u32_e32 v12, 0xfffffc10, v12
	v_and_or_b32 v7, 0xffe, v11, v7
	v_med3_i32 v11, v13, 0, 13
	v_or_b32_e32 v13, 0x1000, v5
	v_med3_i32 v9, v9, 0, 13
	v_or_b32_e32 v14, 0x1000, v7
	v_lshrrev_b32_e32 v15, v11, v13
	v_lshrrev_b32_e32 v16, v9, v14
	v_lshlrev_b32_e32 v11, v11, v15
	v_lshlrev_b32_e32 v9, v9, v16
	v_cmp_ne_u32_e32 vcc_lo, v11, v13
	v_lshl_or_b32 v13, v10, 12, v5
	v_cndmask_b32_e64 v11, 0, 1, vcc_lo
	v_cmp_ne_u32_e32 vcc_lo, v9, v14
	v_lshl_or_b32 v14, v12, 12, v7
	v_or_b32_e32 v11, v15, v11
	v_cndmask_b32_e64 v9, 0, 1, vcc_lo
	v_cmp_gt_i32_e32 vcc_lo, 1, v10
	v_or_b32_e32 v9, v16, v9
	v_cndmask_b32_e32 v11, v13, v11, vcc_lo
	v_cmp_gt_i32_e32 vcc_lo, 1, v12
	v_and_b32_e32 v13, 7, v11
	v_cndmask_b32_e32 v9, v14, v9, vcc_lo
	v_cmp_ne_u32_e32 vcc_lo, 0, v5
	v_lshrrev_b32_e32 v11, 2, v11
	v_cmp_eq_u32_e64 s0, 3, v13
	v_and_b32_e32 v14, 7, v9
	v_cndmask_b32_e64 v5, 0, 1, vcc_lo
	v_cmp_ne_u32_e32 vcc_lo, 0, v7
	v_lshrrev_b32_e32 v9, 2, v9
	v_cmp_lt_i32_e64 s1, 5, v14
	v_cmp_eq_u32_e64 s2, 3, v14
	v_cndmask_b32_e64 v7, 0, 1, vcc_lo
	v_cmp_lt_i32_e32 vcc_lo, 5, v13
	v_lshl_or_b32 v5, v5, 9, 0x7c00
	v_lshl_or_b32 v7, v7, 9, 0x7c00
	s_or_b32 vcc_lo, s0, vcc_lo
	v_add_co_ci_u32_e32 v11, vcc_lo, 0, v11, vcc_lo
	s_or_b32 vcc_lo, s2, s1
	v_add_co_ci_u32_e32 v9, vcc_lo, 0, v9, vcc_lo
	v_cmp_gt_i32_e32 vcc_lo, 31, v10
	v_cndmask_b32_e32 v11, 0x7c00, v11, vcc_lo
	v_cmp_gt_i32_e32 vcc_lo, 31, v12
	v_cndmask_b32_e32 v9, 0x7c00, v9, vcc_lo
	v_cmp_eq_u32_e32 vcc_lo, 0x40f, v10
	v_cndmask_b32_e32 v5, v11, v5, vcc_lo
	v_cmp_eq_u32_e32 vcc_lo, 0x40f, v12
	v_and_or_b32 v5, 0x8000, v6, v5
	v_cndmask_b32_e32 v7, v9, v7, vcc_lo
	v_add_co_u32 v0, vcc_lo, v0, s6
	v_add_co_ci_u32_e32 v1, vcc_lo, s7, v1, vcc_lo
	v_and_or_b32 v6, 0x8000, v8, v7
	v_and_b32_e32 v5, 0xffff, v5
	v_lshl_or_b32 v5, v6, 16, v5
	global_store_dword v[0:1], v5, off
	global_load_dword v7, v[36:37], off offset:552
	ds_read2_b32 v[5:6], v64 offset0:138 offset1:163
	s_waitcnt lgkmcnt(0)
	v_lshrrev_b32_e32 v8, 16, v5
	s_waitcnt vmcnt(0)
	v_mul_f16_sdwa v9, v8, v7 dst_sel:DWORD dst_unused:UNUSED_PAD src0_sel:DWORD src1_sel:WORD_1
	v_mul_f16_sdwa v10, v5, v7 dst_sel:DWORD dst_unused:UNUSED_PAD src0_sel:DWORD src1_sel:WORD_1
	v_fmac_f16_e32 v9, v5, v7
	v_fma_f16 v5, v7, v8, -v10
	v_cvt_f32_f16_e32 v7, v9
	v_cvt_f32_f16_e32 v5, v5
	v_cvt_f64_f32_e32 v[7:8], v7
	v_cvt_f64_f32_e32 v[9:10], v5
	v_mul_f64 v[7:8], v[7:8], s[4:5]
	v_mul_f64 v[9:10], v[9:10], s[4:5]
	v_and_or_b32 v5, 0x1ff, v8, v7
	v_and_or_b32 v9, 0x1ff, v10, v9
	v_lshrrev_b32_e32 v7, 8, v8
	v_bfe_u32 v11, v8, 20, 11
	v_lshrrev_b32_e32 v12, 8, v10
	v_cmp_ne_u32_e32 vcc_lo, 0, v5
	v_bfe_u32 v13, v10, 20, 11
	v_lshrrev_b32_e32 v8, 16, v8
	v_sub_nc_u32_e32 v14, 0x3f1, v11
	v_add_nc_u32_e32 v11, 0xfffffc10, v11
	v_cndmask_b32_e64 v5, 0, 1, vcc_lo
	v_cmp_ne_u32_e32 vcc_lo, 0, v9
	v_lshrrev_b32_e32 v10, 16, v10
	v_and_or_b32 v5, 0xffe, v7, v5
	v_cndmask_b32_e64 v9, 0, 1, vcc_lo
	v_sub_nc_u32_e32 v7, 0x3f1, v13
	v_add_nc_u32_e32 v13, 0xfffffc10, v13
	v_and_or_b32 v9, 0xffe, v12, v9
	v_med3_i32 v12, v14, 0, 13
	v_or_b32_e32 v14, 0x1000, v5
	v_med3_i32 v7, v7, 0, 13
	v_or_b32_e32 v15, 0x1000, v9
	v_lshrrev_b32_e32 v16, v12, v14
	v_lshrrev_b32_e32 v17, v7, v15
	v_lshlrev_b32_e32 v12, v12, v16
	v_lshlrev_b32_e32 v7, v7, v17
	v_cmp_ne_u32_e32 vcc_lo, v12, v14
	v_lshl_or_b32 v14, v11, 12, v5
	v_cndmask_b32_e64 v12, 0, 1, vcc_lo
	v_cmp_ne_u32_e32 vcc_lo, v7, v15
	v_lshl_or_b32 v15, v13, 12, v9
	v_or_b32_e32 v12, v16, v12
	v_cndmask_b32_e64 v7, 0, 1, vcc_lo
	v_cmp_gt_i32_e32 vcc_lo, 1, v11
	v_or_b32_e32 v7, v17, v7
	v_cndmask_b32_e32 v12, v14, v12, vcc_lo
	v_cmp_gt_i32_e32 vcc_lo, 1, v13
	v_and_b32_e32 v14, 7, v12
	v_cndmask_b32_e32 v7, v15, v7, vcc_lo
	v_cmp_ne_u32_e32 vcc_lo, 0, v5
	v_lshrrev_b32_e32 v12, 2, v12
	v_cmp_eq_u32_e64 s0, 3, v14
	v_and_b32_e32 v15, 7, v7
	v_cndmask_b32_e64 v5, 0, 1, vcc_lo
	v_cmp_ne_u32_e32 vcc_lo, 0, v9
	v_lshrrev_b32_e32 v7, 2, v7
	v_cmp_lt_i32_e64 s1, 5, v15
	v_cmp_eq_u32_e64 s2, 3, v15
	v_cndmask_b32_e64 v9, 0, 1, vcc_lo
	v_cmp_lt_i32_e32 vcc_lo, 5, v14
	v_lshl_or_b32 v5, v5, 9, 0x7c00
	v_lshl_or_b32 v9, v9, 9, 0x7c00
	s_or_b32 vcc_lo, s0, vcc_lo
	v_add_co_ci_u32_e32 v12, vcc_lo, 0, v12, vcc_lo
	s_or_b32 vcc_lo, s2, s1
	v_add_co_ci_u32_e32 v7, vcc_lo, 0, v7, vcc_lo
	v_cmp_gt_i32_e32 vcc_lo, 31, v11
	v_cndmask_b32_e32 v12, 0x7c00, v12, vcc_lo
	v_cmp_gt_i32_e32 vcc_lo, 31, v13
	v_cndmask_b32_e32 v7, 0x7c00, v7, vcc_lo
	v_cmp_eq_u32_e32 vcc_lo, 0x40f, v11
	v_cndmask_b32_e32 v5, v12, v5, vcc_lo
	v_cmp_eq_u32_e32 vcc_lo, 0x40f, v13
	v_and_or_b32 v5, 0x8000, v8, v5
	v_cndmask_b32_e32 v7, v7, v9, vcc_lo
	v_add_co_u32 v0, vcc_lo, v0, s6
	v_add_co_ci_u32_e32 v1, vcc_lo, s7, v1, vcc_lo
	v_and_or_b32 v7, 0x8000, v10, v7
	v_and_b32_e32 v5, 0xffff, v5
	v_lshl_or_b32 v5, v7, 16, v5
	v_lshrrev_b32_e32 v7, 16, v6
	global_store_dword v[0:1], v5, off
	global_load_dword v5, v[36:37], off offset:652
	s_waitcnt vmcnt(0)
	v_mul_f16_sdwa v8, v7, v5 dst_sel:DWORD dst_unused:UNUSED_PAD src0_sel:DWORD src1_sel:WORD_1
	v_mul_f16_sdwa v9, v6, v5 dst_sel:DWORD dst_unused:UNUSED_PAD src0_sel:DWORD src1_sel:WORD_1
	v_fmac_f16_e32 v8, v6, v5
	v_fma_f16 v5, v5, v7, -v9
	v_cvt_f32_f16_e32 v6, v8
	v_cvt_f32_f16_e32 v7, v5
	v_cvt_f64_f32_e32 v[5:6], v6
	v_cvt_f64_f32_e32 v[7:8], v7
	v_mul_f64 v[5:6], v[5:6], s[4:5]
	v_mul_f64 v[7:8], v[7:8], s[4:5]
	v_and_or_b32 v5, 0x1ff, v6, v5
	v_and_or_b32 v7, 0x1ff, v8, v7
	v_lshrrev_b32_e32 v9, 8, v6
	v_bfe_u32 v10, v6, 20, 11
	v_lshrrev_b32_e32 v11, 8, v8
	v_cmp_ne_u32_e32 vcc_lo, 0, v5
	v_bfe_u32 v12, v8, 20, 11
	v_lshrrev_b32_e32 v6, 16, v6
	v_sub_nc_u32_e32 v13, 0x3f1, v10
	v_add_nc_u32_e32 v10, 0xfffffc10, v10
	v_cndmask_b32_e64 v5, 0, 1, vcc_lo
	v_cmp_ne_u32_e32 vcc_lo, 0, v7
	v_lshrrev_b32_e32 v8, 16, v8
	v_and_or_b32 v5, 0xffe, v9, v5
	v_cndmask_b32_e64 v7, 0, 1, vcc_lo
	v_sub_nc_u32_e32 v9, 0x3f1, v12
	v_add_nc_u32_e32 v12, 0xfffffc10, v12
	v_and_or_b32 v7, 0xffe, v11, v7
	v_med3_i32 v11, v13, 0, 13
	v_or_b32_e32 v13, 0x1000, v5
	v_med3_i32 v9, v9, 0, 13
	v_or_b32_e32 v14, 0x1000, v7
	v_lshrrev_b32_e32 v15, v11, v13
	v_lshrrev_b32_e32 v16, v9, v14
	v_lshlrev_b32_e32 v11, v11, v15
	v_lshlrev_b32_e32 v9, v9, v16
	v_cmp_ne_u32_e32 vcc_lo, v11, v13
	v_lshl_or_b32 v13, v10, 12, v5
	v_cndmask_b32_e64 v11, 0, 1, vcc_lo
	v_cmp_ne_u32_e32 vcc_lo, v9, v14
	v_lshl_or_b32 v14, v12, 12, v7
	v_or_b32_e32 v11, v15, v11
	v_cndmask_b32_e64 v9, 0, 1, vcc_lo
	v_cmp_gt_i32_e32 vcc_lo, 1, v10
	v_or_b32_e32 v9, v16, v9
	v_cndmask_b32_e32 v11, v13, v11, vcc_lo
	v_cmp_gt_i32_e32 vcc_lo, 1, v12
	v_and_b32_e32 v13, 7, v11
	v_cndmask_b32_e32 v9, v14, v9, vcc_lo
	v_cmp_ne_u32_e32 vcc_lo, 0, v5
	v_lshrrev_b32_e32 v11, 2, v11
	v_cmp_eq_u32_e64 s0, 3, v13
	v_and_b32_e32 v14, 7, v9
	v_cndmask_b32_e64 v5, 0, 1, vcc_lo
	v_cmp_ne_u32_e32 vcc_lo, 0, v7
	v_lshrrev_b32_e32 v9, 2, v9
	v_cmp_lt_i32_e64 s1, 5, v14
	v_cmp_eq_u32_e64 s2, 3, v14
	v_cndmask_b32_e64 v7, 0, 1, vcc_lo
	v_cmp_lt_i32_e32 vcc_lo, 5, v13
	v_lshl_or_b32 v5, v5, 9, 0x7c00
	v_lshl_or_b32 v7, v7, 9, 0x7c00
	s_or_b32 vcc_lo, s0, vcc_lo
	v_add_co_ci_u32_e32 v11, vcc_lo, 0, v11, vcc_lo
	s_or_b32 vcc_lo, s2, s1
	v_add_co_ci_u32_e32 v9, vcc_lo, 0, v9, vcc_lo
	v_cmp_gt_i32_e32 vcc_lo, 31, v10
	v_cndmask_b32_e32 v11, 0x7c00, v11, vcc_lo
	v_cmp_gt_i32_e32 vcc_lo, 31, v12
	v_cndmask_b32_e32 v9, 0x7c00, v9, vcc_lo
	v_cmp_eq_u32_e32 vcc_lo, 0x40f, v10
	v_cndmask_b32_e32 v5, v11, v5, vcc_lo
	v_cmp_eq_u32_e32 vcc_lo, 0x40f, v12
	v_and_or_b32 v5, 0x8000, v6, v5
	v_cndmask_b32_e32 v7, v9, v7, vcc_lo
	v_add_co_u32 v0, vcc_lo, v0, s6
	v_add_co_ci_u32_e32 v1, vcc_lo, s7, v1, vcc_lo
	v_and_or_b32 v6, 0x8000, v8, v7
	v_and_b32_e32 v5, 0xffff, v5
	v_lshl_or_b32 v5, v6, 16, v5
	global_store_dword v[0:1], v5, off
	global_load_dword v7, v[36:37], off offset:752
	ds_read2_b32 v[5:6], v64 offset0:188 offset1:213
	s_waitcnt lgkmcnt(0)
	v_lshrrev_b32_e32 v8, 16, v5
	s_waitcnt vmcnt(0)
	v_mul_f16_sdwa v9, v8, v7 dst_sel:DWORD dst_unused:UNUSED_PAD src0_sel:DWORD src1_sel:WORD_1
	v_mul_f16_sdwa v10, v5, v7 dst_sel:DWORD dst_unused:UNUSED_PAD src0_sel:DWORD src1_sel:WORD_1
	v_fmac_f16_e32 v9, v5, v7
	v_fma_f16 v5, v7, v8, -v10
	v_cvt_f32_f16_e32 v7, v9
	v_cvt_f32_f16_e32 v5, v5
	v_cvt_f64_f32_e32 v[7:8], v7
	v_cvt_f64_f32_e32 v[9:10], v5
	v_mul_f64 v[7:8], v[7:8], s[4:5]
	v_mul_f64 v[9:10], v[9:10], s[4:5]
	v_and_or_b32 v5, 0x1ff, v8, v7
	v_and_or_b32 v9, 0x1ff, v10, v9
	v_lshrrev_b32_e32 v7, 8, v8
	v_bfe_u32 v11, v8, 20, 11
	v_lshrrev_b32_e32 v12, 8, v10
	v_cmp_ne_u32_e32 vcc_lo, 0, v5
	v_bfe_u32 v13, v10, 20, 11
	v_lshrrev_b32_e32 v8, 16, v8
	v_sub_nc_u32_e32 v14, 0x3f1, v11
	v_add_nc_u32_e32 v11, 0xfffffc10, v11
	v_cndmask_b32_e64 v5, 0, 1, vcc_lo
	v_cmp_ne_u32_e32 vcc_lo, 0, v9
	v_lshrrev_b32_e32 v10, 16, v10
	v_and_or_b32 v5, 0xffe, v7, v5
	v_cndmask_b32_e64 v9, 0, 1, vcc_lo
	v_sub_nc_u32_e32 v7, 0x3f1, v13
	v_add_nc_u32_e32 v13, 0xfffffc10, v13
	v_and_or_b32 v9, 0xffe, v12, v9
	v_med3_i32 v12, v14, 0, 13
	v_or_b32_e32 v14, 0x1000, v5
	v_med3_i32 v7, v7, 0, 13
	v_or_b32_e32 v15, 0x1000, v9
	v_lshrrev_b32_e32 v16, v12, v14
	v_lshrrev_b32_e32 v17, v7, v15
	v_lshlrev_b32_e32 v12, v12, v16
	v_lshlrev_b32_e32 v7, v7, v17
	v_cmp_ne_u32_e32 vcc_lo, v12, v14
	v_lshl_or_b32 v14, v11, 12, v5
	v_cndmask_b32_e64 v12, 0, 1, vcc_lo
	v_cmp_ne_u32_e32 vcc_lo, v7, v15
	v_lshl_or_b32 v15, v13, 12, v9
	v_or_b32_e32 v12, v16, v12
	v_cndmask_b32_e64 v7, 0, 1, vcc_lo
	v_cmp_gt_i32_e32 vcc_lo, 1, v11
	v_or_b32_e32 v7, v17, v7
	v_cndmask_b32_e32 v12, v14, v12, vcc_lo
	v_cmp_gt_i32_e32 vcc_lo, 1, v13
	v_and_b32_e32 v14, 7, v12
	v_cndmask_b32_e32 v7, v15, v7, vcc_lo
	v_cmp_ne_u32_e32 vcc_lo, 0, v5
	v_lshrrev_b32_e32 v12, 2, v12
	v_cmp_eq_u32_e64 s0, 3, v14
	v_and_b32_e32 v15, 7, v7
	v_cndmask_b32_e64 v5, 0, 1, vcc_lo
	v_cmp_ne_u32_e32 vcc_lo, 0, v9
	v_lshrrev_b32_e32 v7, 2, v7
	v_cmp_lt_i32_e64 s1, 5, v15
	v_cmp_eq_u32_e64 s2, 3, v15
	v_cndmask_b32_e64 v9, 0, 1, vcc_lo
	v_cmp_lt_i32_e32 vcc_lo, 5, v14
	v_lshl_or_b32 v5, v5, 9, 0x7c00
	v_lshl_or_b32 v9, v9, 9, 0x7c00
	s_or_b32 vcc_lo, s0, vcc_lo
	v_add_co_ci_u32_e32 v12, vcc_lo, 0, v12, vcc_lo
	s_or_b32 vcc_lo, s2, s1
	v_add_co_ci_u32_e32 v7, vcc_lo, 0, v7, vcc_lo
	v_cmp_gt_i32_e32 vcc_lo, 31, v11
	v_cndmask_b32_e32 v12, 0x7c00, v12, vcc_lo
	v_cmp_gt_i32_e32 vcc_lo, 31, v13
	v_cndmask_b32_e32 v7, 0x7c00, v7, vcc_lo
	v_cmp_eq_u32_e32 vcc_lo, 0x40f, v11
	v_cndmask_b32_e32 v5, v12, v5, vcc_lo
	v_cmp_eq_u32_e32 vcc_lo, 0x40f, v13
	v_and_or_b32 v5, 0x8000, v8, v5
	v_cndmask_b32_e32 v7, v7, v9, vcc_lo
	v_add_co_u32 v0, vcc_lo, v0, s6
	v_add_co_ci_u32_e32 v1, vcc_lo, s7, v1, vcc_lo
	v_and_or_b32 v7, 0x8000, v10, v7
	v_and_b32_e32 v5, 0xffff, v5
	v_lshl_or_b32 v5, v7, 16, v5
	v_lshrrev_b32_e32 v7, 16, v6
	global_store_dword v[0:1], v5, off
	global_load_dword v5, v[36:37], off offset:852
	s_waitcnt vmcnt(0)
	v_mul_f16_sdwa v8, v7, v5 dst_sel:DWORD dst_unused:UNUSED_PAD src0_sel:DWORD src1_sel:WORD_1
	v_mul_f16_sdwa v9, v6, v5 dst_sel:DWORD dst_unused:UNUSED_PAD src0_sel:DWORD src1_sel:WORD_1
	v_fmac_f16_e32 v8, v6, v5
	v_fma_f16 v5, v5, v7, -v9
	v_cvt_f32_f16_e32 v6, v8
	v_cvt_f32_f16_e32 v7, v5
	v_cvt_f64_f32_e32 v[5:6], v6
	v_cvt_f64_f32_e32 v[7:8], v7
	v_mul_f64 v[5:6], v[5:6], s[4:5]
	v_mul_f64 v[7:8], v[7:8], s[4:5]
	v_and_or_b32 v5, 0x1ff, v6, v5
	v_and_or_b32 v7, 0x1ff, v8, v7
	v_lshrrev_b32_e32 v9, 8, v6
	v_bfe_u32 v10, v6, 20, 11
	v_lshrrev_b32_e32 v11, 8, v8
	v_cmp_ne_u32_e32 vcc_lo, 0, v5
	v_bfe_u32 v12, v8, 20, 11
	v_lshrrev_b32_e32 v6, 16, v6
	v_sub_nc_u32_e32 v13, 0x3f1, v10
	v_add_nc_u32_e32 v10, 0xfffffc10, v10
	v_cndmask_b32_e64 v5, 0, 1, vcc_lo
	v_cmp_ne_u32_e32 vcc_lo, 0, v7
	v_lshrrev_b32_e32 v8, 16, v8
	v_and_or_b32 v5, 0xffe, v9, v5
	v_cndmask_b32_e64 v7, 0, 1, vcc_lo
	v_sub_nc_u32_e32 v9, 0x3f1, v12
	v_add_nc_u32_e32 v12, 0xfffffc10, v12
	v_and_or_b32 v7, 0xffe, v11, v7
	v_med3_i32 v11, v13, 0, 13
	v_or_b32_e32 v13, 0x1000, v5
	v_med3_i32 v9, v9, 0, 13
	v_or_b32_e32 v14, 0x1000, v7
	v_lshrrev_b32_e32 v15, v11, v13
	v_lshrrev_b32_e32 v16, v9, v14
	v_lshlrev_b32_e32 v11, v11, v15
	v_lshlrev_b32_e32 v9, v9, v16
	v_cmp_ne_u32_e32 vcc_lo, v11, v13
	v_lshl_or_b32 v13, v10, 12, v5
	v_cndmask_b32_e64 v11, 0, 1, vcc_lo
	v_cmp_ne_u32_e32 vcc_lo, v9, v14
	v_lshl_or_b32 v14, v12, 12, v7
	v_or_b32_e32 v11, v15, v11
	v_cndmask_b32_e64 v9, 0, 1, vcc_lo
	v_cmp_gt_i32_e32 vcc_lo, 1, v10
	v_or_b32_e32 v9, v16, v9
	v_cndmask_b32_e32 v11, v13, v11, vcc_lo
	v_cmp_gt_i32_e32 vcc_lo, 1, v12
	v_and_b32_e32 v13, 7, v11
	v_cndmask_b32_e32 v9, v14, v9, vcc_lo
	v_cmp_ne_u32_e32 vcc_lo, 0, v5
	v_lshrrev_b32_e32 v11, 2, v11
	v_cmp_eq_u32_e64 s0, 3, v13
	v_and_b32_e32 v14, 7, v9
	v_cndmask_b32_e64 v5, 0, 1, vcc_lo
	v_cmp_ne_u32_e32 vcc_lo, 0, v7
	v_lshrrev_b32_e32 v9, 2, v9
	v_cmp_lt_i32_e64 s1, 5, v14
	v_cmp_eq_u32_e64 s2, 3, v14
	v_cndmask_b32_e64 v7, 0, 1, vcc_lo
	v_cmp_lt_i32_e32 vcc_lo, 5, v13
	v_lshl_or_b32 v5, v5, 9, 0x7c00
	v_lshl_or_b32 v7, v7, 9, 0x7c00
	s_or_b32 vcc_lo, s0, vcc_lo
	v_add_co_ci_u32_e32 v11, vcc_lo, 0, v11, vcc_lo
	s_or_b32 vcc_lo, s2, s1
	v_add_co_ci_u32_e32 v9, vcc_lo, 0, v9, vcc_lo
	v_cmp_gt_i32_e32 vcc_lo, 31, v10
	v_cndmask_b32_e32 v11, 0x7c00, v11, vcc_lo
	v_cmp_gt_i32_e32 vcc_lo, 31, v12
	v_cndmask_b32_e32 v9, 0x7c00, v9, vcc_lo
	v_cmp_eq_u32_e32 vcc_lo, 0x40f, v10
	v_cndmask_b32_e32 v5, v11, v5, vcc_lo
	v_cmp_eq_u32_e32 vcc_lo, 0x40f, v12
	v_and_or_b32 v5, 0x8000, v6, v5
	v_cndmask_b32_e32 v7, v9, v7, vcc_lo
	v_add_co_u32 v0, vcc_lo, v0, s6
	v_add_co_ci_u32_e32 v1, vcc_lo, s7, v1, vcc_lo
	v_and_or_b32 v6, 0x8000, v8, v7
	v_and_b32_e32 v5, 0xffff, v5
	v_lshl_or_b32 v5, v6, 16, v5
	global_store_dword v[0:1], v5, off
	global_load_dword v6, v[36:37], off offset:952
	ds_read2_b32 v[4:5], v4 offset0:110 offset1:135
	s_waitcnt lgkmcnt(0)
	v_lshrrev_b32_e32 v7, 16, v4
	s_waitcnt vmcnt(0)
	v_mul_f16_sdwa v8, v7, v6 dst_sel:DWORD dst_unused:UNUSED_PAD src0_sel:DWORD src1_sel:WORD_1
	v_mul_f16_sdwa v9, v4, v6 dst_sel:DWORD dst_unused:UNUSED_PAD src0_sel:DWORD src1_sel:WORD_1
	v_fmac_f16_e32 v8, v4, v6
	v_fma_f16 v4, v6, v7, -v9
	v_cvt_f32_f16_e32 v6, v8
	v_cvt_f32_f16_e32 v4, v4
	v_cvt_f64_f32_e32 v[6:7], v6
	v_cvt_f64_f32_e32 v[8:9], v4
	v_mul_f64 v[6:7], v[6:7], s[4:5]
	v_mul_f64 v[8:9], v[8:9], s[4:5]
	v_and_or_b32 v4, 0x1ff, v7, v6
	v_and_or_b32 v8, 0x1ff, v9, v8
	v_lshrrev_b32_e32 v6, 8, v7
	v_bfe_u32 v10, v7, 20, 11
	v_lshrrev_b32_e32 v11, 8, v9
	v_cmp_ne_u32_e32 vcc_lo, 0, v4
	v_bfe_u32 v12, v9, 20, 11
	v_lshrrev_b32_e32 v7, 16, v7
	v_sub_nc_u32_e32 v13, 0x3f1, v10
	v_add_nc_u32_e32 v10, 0xfffffc10, v10
	v_cndmask_b32_e64 v4, 0, 1, vcc_lo
	v_cmp_ne_u32_e32 vcc_lo, 0, v8
	v_lshrrev_b32_e32 v9, 16, v9
	v_and_or_b32 v4, 0xffe, v6, v4
	v_cndmask_b32_e64 v8, 0, 1, vcc_lo
	v_sub_nc_u32_e32 v6, 0x3f1, v12
	v_add_nc_u32_e32 v12, 0xfffffc10, v12
	v_and_or_b32 v8, 0xffe, v11, v8
	v_med3_i32 v11, v13, 0, 13
	v_or_b32_e32 v13, 0x1000, v4
	v_med3_i32 v6, v6, 0, 13
	v_or_b32_e32 v14, 0x1000, v8
	v_lshrrev_b32_e32 v15, v11, v13
	v_lshrrev_b32_e32 v16, v6, v14
	v_lshlrev_b32_e32 v11, v11, v15
	v_lshlrev_b32_e32 v6, v6, v16
	v_cmp_ne_u32_e32 vcc_lo, v11, v13
	v_lshl_or_b32 v13, v10, 12, v4
	v_cndmask_b32_e64 v11, 0, 1, vcc_lo
	v_cmp_ne_u32_e32 vcc_lo, v6, v14
	v_lshl_or_b32 v14, v12, 12, v8
	v_or_b32_e32 v11, v15, v11
	v_cndmask_b32_e64 v6, 0, 1, vcc_lo
	v_cmp_gt_i32_e32 vcc_lo, 1, v10
	v_or_b32_e32 v6, v16, v6
	v_cndmask_b32_e32 v11, v13, v11, vcc_lo
	v_cmp_gt_i32_e32 vcc_lo, 1, v12
	v_and_b32_e32 v13, 7, v11
	v_cndmask_b32_e32 v6, v14, v6, vcc_lo
	v_cmp_ne_u32_e32 vcc_lo, 0, v4
	v_lshrrev_b32_e32 v11, 2, v11
	v_cmp_eq_u32_e64 s0, 3, v13
	v_and_b32_e32 v14, 7, v6
	v_cndmask_b32_e64 v4, 0, 1, vcc_lo
	v_cmp_ne_u32_e32 vcc_lo, 0, v8
	v_lshrrev_b32_e32 v6, 2, v6
	v_cmp_lt_i32_e64 s1, 5, v14
	v_cmp_eq_u32_e64 s2, 3, v14
	v_cndmask_b32_e64 v8, 0, 1, vcc_lo
	v_cmp_lt_i32_e32 vcc_lo, 5, v13
	v_lshl_or_b32 v4, v4, 9, 0x7c00
	v_lshl_or_b32 v8, v8, 9, 0x7c00
	s_or_b32 vcc_lo, s0, vcc_lo
	v_add_co_ci_u32_e32 v11, vcc_lo, 0, v11, vcc_lo
	s_or_b32 vcc_lo, s2, s1
	v_add_co_ci_u32_e32 v6, vcc_lo, 0, v6, vcc_lo
	v_cmp_gt_i32_e32 vcc_lo, 31, v10
	v_cndmask_b32_e32 v11, 0x7c00, v11, vcc_lo
	v_cmp_gt_i32_e32 vcc_lo, 31, v12
	v_cndmask_b32_e32 v6, 0x7c00, v6, vcc_lo
	v_cmp_eq_u32_e32 vcc_lo, 0x40f, v10
	v_cndmask_b32_e32 v4, v11, v4, vcc_lo
	v_cmp_eq_u32_e32 vcc_lo, 0x40f, v12
	v_and_or_b32 v4, 0x8000, v7, v4
	v_cndmask_b32_e32 v6, v6, v8, vcc_lo
	v_add_co_u32 v0, vcc_lo, v0, s6
	v_add_co_ci_u32_e32 v1, vcc_lo, s7, v1, vcc_lo
	v_and_or_b32 v6, 0x8000, v9, v6
	v_and_b32_e32 v4, 0xffff, v4
	v_lshl_or_b32 v4, v6, 16, v4
	v_lshrrev_b32_e32 v6, 16, v5
	global_store_dword v[0:1], v4, off
	global_load_dword v4, v[36:37], off offset:1052
	s_waitcnt vmcnt(0)
	v_mul_f16_sdwa v7, v6, v4 dst_sel:DWORD dst_unused:UNUSED_PAD src0_sel:DWORD src1_sel:WORD_1
	v_mul_f16_sdwa v8, v5, v4 dst_sel:DWORD dst_unused:UNUSED_PAD src0_sel:DWORD src1_sel:WORD_1
	v_fmac_f16_e32 v7, v5, v4
	v_fma_f16 v4, v4, v6, -v8
	v_cvt_f32_f16_e32 v5, v7
	v_cvt_f32_f16_e32 v6, v4
	v_cvt_f64_f32_e32 v[4:5], v5
	v_cvt_f64_f32_e32 v[6:7], v6
	v_mul_f64 v[4:5], v[4:5], s[4:5]
	v_mul_f64 v[6:7], v[6:7], s[4:5]
	v_and_or_b32 v4, 0x1ff, v5, v4
	v_and_or_b32 v6, 0x1ff, v7, v6
	v_lshrrev_b32_e32 v8, 8, v5
	v_bfe_u32 v9, v5, 20, 11
	v_lshrrev_b32_e32 v10, 8, v7
	v_cmp_ne_u32_e32 vcc_lo, 0, v4
	v_bfe_u32 v11, v7, 20, 11
	v_lshrrev_b32_e32 v5, 16, v5
	v_sub_nc_u32_e32 v12, 0x3f1, v9
	v_add_nc_u32_e32 v9, 0xfffffc10, v9
	v_cndmask_b32_e64 v4, 0, 1, vcc_lo
	v_cmp_ne_u32_e32 vcc_lo, 0, v6
	v_lshrrev_b32_e32 v7, 16, v7
	v_and_or_b32 v4, 0xffe, v8, v4
	v_cndmask_b32_e64 v6, 0, 1, vcc_lo
	v_sub_nc_u32_e32 v8, 0x3f1, v11
	v_add_nc_u32_e32 v11, 0xfffffc10, v11
	v_and_or_b32 v6, 0xffe, v10, v6
	v_med3_i32 v10, v12, 0, 13
	v_or_b32_e32 v12, 0x1000, v4
	v_med3_i32 v8, v8, 0, 13
	v_or_b32_e32 v13, 0x1000, v6
	v_lshrrev_b32_e32 v14, v10, v12
	v_lshrrev_b32_e32 v15, v8, v13
	v_lshlrev_b32_e32 v10, v10, v14
	v_lshlrev_b32_e32 v8, v8, v15
	v_cmp_ne_u32_e32 vcc_lo, v10, v12
	v_lshl_or_b32 v12, v9, 12, v4
	v_cndmask_b32_e64 v10, 0, 1, vcc_lo
	v_cmp_ne_u32_e32 vcc_lo, v8, v13
	v_lshl_or_b32 v13, v11, 12, v6
	v_or_b32_e32 v10, v14, v10
	v_cndmask_b32_e64 v8, 0, 1, vcc_lo
	v_cmp_gt_i32_e32 vcc_lo, 1, v9
	v_or_b32_e32 v8, v15, v8
	v_cndmask_b32_e32 v10, v12, v10, vcc_lo
	v_cmp_gt_i32_e32 vcc_lo, 1, v11
	v_and_b32_e32 v12, 7, v10
	v_cndmask_b32_e32 v8, v13, v8, vcc_lo
	v_cmp_ne_u32_e32 vcc_lo, 0, v4
	v_lshrrev_b32_e32 v10, 2, v10
	v_cmp_eq_u32_e64 s0, 3, v12
	v_and_b32_e32 v13, 7, v8
	v_cndmask_b32_e64 v4, 0, 1, vcc_lo
	v_cmp_ne_u32_e32 vcc_lo, 0, v6
	v_lshrrev_b32_e32 v8, 2, v8
	v_cmp_lt_i32_e64 s1, 5, v13
	v_cmp_eq_u32_e64 s2, 3, v13
	v_cndmask_b32_e64 v6, 0, 1, vcc_lo
	v_cmp_lt_i32_e32 vcc_lo, 5, v12
	v_lshl_or_b32 v4, v4, 9, 0x7c00
	v_lshl_or_b32 v6, v6, 9, 0x7c00
	s_or_b32 vcc_lo, s0, vcc_lo
	v_add_co_ci_u32_e32 v10, vcc_lo, 0, v10, vcc_lo
	s_or_b32 vcc_lo, s2, s1
	v_add_co_ci_u32_e32 v8, vcc_lo, 0, v8, vcc_lo
	v_cmp_gt_i32_e32 vcc_lo, 31, v9
	v_cndmask_b32_e32 v10, 0x7c00, v10, vcc_lo
	v_cmp_gt_i32_e32 vcc_lo, 31, v11
	v_cndmask_b32_e32 v8, 0x7c00, v8, vcc_lo
	v_cmp_eq_u32_e32 vcc_lo, 0x40f, v9
	v_cndmask_b32_e32 v4, v10, v4, vcc_lo
	v_cmp_eq_u32_e32 vcc_lo, 0x40f, v11
	v_and_or_b32 v4, 0x8000, v5, v4
	v_cndmask_b32_e32 v6, v8, v6, vcc_lo
	v_add_co_u32 v0, vcc_lo, v0, s6
	v_add_co_ci_u32_e32 v1, vcc_lo, s7, v1, vcc_lo
	v_and_or_b32 v5, 0x8000, v7, v6
	v_and_b32_e32 v4, 0xffff, v4
	v_lshl_or_b32 v4, v5, 16, v4
	global_store_dword v[0:1], v4, off
	global_load_dword v6, v[36:37], off offset:1152
	ds_read2_b32 v[4:5], v45 offset0:32 offset1:57
	v_mad_u64_u32 v[0:1], null, 0xc8, s8, v[0:1]
	s_waitcnt lgkmcnt(0)
	v_lshrrev_b32_e32 v7, 16, v4
	s_waitcnt vmcnt(0)
	v_mul_f16_sdwa v8, v7, v6 dst_sel:DWORD dst_unused:UNUSED_PAD src0_sel:DWORD src1_sel:WORD_1
	v_mul_f16_sdwa v9, v4, v6 dst_sel:DWORD dst_unused:UNUSED_PAD src0_sel:DWORD src1_sel:WORD_1
	v_fmac_f16_e32 v8, v4, v6
	v_fma_f16 v4, v6, v7, -v9
	v_cvt_f32_f16_e32 v6, v8
	v_cvt_f32_f16_e32 v4, v4
	v_cvt_f64_f32_e32 v[6:7], v6
	v_cvt_f64_f32_e32 v[8:9], v4
	v_mul_f64 v[6:7], v[6:7], s[4:5]
	v_mul_f64 v[8:9], v[8:9], s[4:5]
	v_and_or_b32 v4, 0x1ff, v7, v6
	v_and_or_b32 v8, 0x1ff, v9, v8
	v_lshrrev_b32_e32 v6, 8, v7
	v_bfe_u32 v12, v7, 20, 11
	v_lshrrev_b32_e32 v10, 8, v9
	v_cmp_ne_u32_e32 vcc_lo, 0, v4
	v_bfe_u32 v13, v9, 20, 11
	v_lshrrev_b32_e32 v7, 16, v7
	v_sub_nc_u32_e32 v11, 0x3f1, v12
	v_lshrrev_b32_e32 v9, 16, v9
	v_cndmask_b32_e64 v4, 0, 1, vcc_lo
	v_cmp_ne_u32_e32 vcc_lo, 0, v8
	v_sub_nc_u32_e32 v14, 0x3f1, v13
	v_add_nc_u32_e32 v13, 0xfffffc10, v13
	v_and_or_b32 v6, 0xffe, v6, v4
	v_cndmask_b32_e64 v8, 0, 1, vcc_lo
	v_med3_i32 v4, v11, 0, 13
	v_med3_i32 v14, v14, 0, 13
	v_or_b32_e32 v15, 0x1000, v6
	v_and_or_b32 v8, 0xffe, v10, v8
	v_mad_u64_u32 v[10:11], null, s8, v63, 0
	v_lshrrev_b32_e32 v17, v4, v15
	v_or_b32_e32 v16, 0x1000, v8
	v_lshlrev_b32_e32 v19, v4, v17
	v_lshrrev_b32_e32 v18, v14, v16
	v_mov_b32_e32 v4, v11
	v_cmp_ne_u32_e32 vcc_lo, v19, v15
	v_lshlrev_b32_e32 v11, v14, v18
	v_add_nc_u32_e32 v14, 0xfffffc10, v12
	v_cndmask_b32_e64 v15, 0, 1, vcc_lo
	v_cmp_ne_u32_e32 vcc_lo, v11, v16
	v_mad_u64_u32 v[11:12], null, s9, v63, v[4:5]
	v_lshl_or_b32 v4, v14, 12, v6
	v_or_b32_e32 v12, v17, v15
	v_cndmask_b32_e64 v16, 0, 1, vcc_lo
	v_cmp_gt_i32_e32 vcc_lo, 1, v14
	v_lshl_or_b32 v15, v13, 12, v8
	v_or_b32_e32 v16, v18, v16
	v_cndmask_b32_e32 v4, v4, v12, vcc_lo
	v_cmp_gt_i32_e32 vcc_lo, 1, v13
	v_cndmask_b32_e32 v12, v15, v16, vcc_lo
	v_cmp_ne_u32_e32 vcc_lo, 0, v6
	v_and_b32_e32 v15, 7, v4
	v_lshrrev_b32_e32 v4, 2, v4
	v_and_b32_e32 v16, 7, v12
	v_cndmask_b32_e64 v6, 0, 1, vcc_lo
	v_cmp_ne_u32_e32 vcc_lo, 0, v8
	v_cmp_eq_u32_e64 s0, 3, v15
	v_lshrrev_b32_e32 v12, 2, v12
	v_cmp_lt_i32_e64 s1, 5, v16
	v_cmp_eq_u32_e64 s2, 3, v16
	v_cndmask_b32_e64 v8, 0, 1, vcc_lo
	v_cmp_lt_i32_e32 vcc_lo, 5, v15
	v_lshl_or_b32 v6, v6, 9, 0x7c00
	v_lshl_or_b32 v8, v8, 9, 0x7c00
	s_or_b32 vcc_lo, s0, vcc_lo
	v_add_co_ci_u32_e32 v4, vcc_lo, 0, v4, vcc_lo
	s_or_b32 vcc_lo, s2, s1
	v_add_co_ci_u32_e32 v12, vcc_lo, 0, v12, vcc_lo
	v_cmp_gt_i32_e32 vcc_lo, 31, v14
	v_cndmask_b32_e32 v4, 0x7c00, v4, vcc_lo
	v_cmp_gt_i32_e32 vcc_lo, 31, v13
	v_cndmask_b32_e32 v12, 0x7c00, v12, vcc_lo
	v_cmp_eq_u32_e32 vcc_lo, 0x40f, v14
	v_cndmask_b32_e32 v4, v4, v6, vcc_lo
	v_cmp_eq_u32_e32 vcc_lo, 0x40f, v13
	v_and_or_b32 v4, 0x8000, v7, v4
	v_cndmask_b32_e32 v8, v12, v8, vcc_lo
	v_lshlrev_b64 v[6:7], 2, v[10:11]
	v_and_b32_e32 v4, 0xffff, v4
	v_and_or_b32 v8, 0x8000, v9, v8
	v_add_co_u32 v2, vcc_lo, v2, v6
	v_add_co_ci_u32_e32 v3, vcc_lo, v3, v7, vcc_lo
	v_lshl_or_b32 v4, v8, 16, v4
	global_store_dword v[2:3], v4, off
	global_load_dword v2, v[36:37], off offset:1252
	v_lshrrev_b32_e32 v3, 16, v5
	s_waitcnt vmcnt(0)
	v_mul_f16_sdwa v4, v3, v2 dst_sel:DWORD dst_unused:UNUSED_PAD src0_sel:DWORD src1_sel:WORD_1
	v_mul_f16_sdwa v6, v5, v2 dst_sel:DWORD dst_unused:UNUSED_PAD src0_sel:DWORD src1_sel:WORD_1
	v_fmac_f16_e32 v4, v5, v2
	v_fma_f16 v2, v2, v3, -v6
	v_cvt_f32_f16_e32 v3, v4
	v_cvt_f32_f16_e32 v4, v2
	v_cvt_f64_f32_e32 v[2:3], v3
	v_cvt_f64_f32_e32 v[4:5], v4
	v_mul_f64 v[2:3], v[2:3], s[4:5]
	v_mul_f64 v[4:5], v[4:5], s[4:5]
	v_and_or_b32 v2, 0x1ff, v3, v2
	v_and_or_b32 v4, 0x1ff, v5, v4
	v_lshrrev_b32_e32 v6, 8, v3
	v_bfe_u32 v7, v3, 20, 11
	v_lshrrev_b32_e32 v8, 8, v5
	v_cmp_ne_u32_e32 vcc_lo, 0, v2
	v_bfe_u32 v9, v5, 20, 11
	v_lshrrev_b32_e32 v3, 16, v3
	v_sub_nc_u32_e32 v10, 0x3f1, v7
	v_add_nc_u32_e32 v7, 0xfffffc10, v7
	v_cndmask_b32_e64 v2, 0, 1, vcc_lo
	v_cmp_ne_u32_e32 vcc_lo, 0, v4
	v_lshrrev_b32_e32 v5, 16, v5
	v_and_or_b32 v2, 0xffe, v6, v2
	v_cndmask_b32_e64 v4, 0, 1, vcc_lo
	v_sub_nc_u32_e32 v6, 0x3f1, v9
	v_add_nc_u32_e32 v9, 0xfffffc10, v9
	v_and_or_b32 v4, 0xffe, v8, v4
	v_med3_i32 v8, v10, 0, 13
	v_or_b32_e32 v10, 0x1000, v2
	v_med3_i32 v6, v6, 0, 13
	v_or_b32_e32 v11, 0x1000, v4
	v_lshrrev_b32_e32 v12, v8, v10
	v_lshrrev_b32_e32 v13, v6, v11
	v_lshlrev_b32_e32 v8, v8, v12
	v_lshlrev_b32_e32 v6, v6, v13
	v_cmp_ne_u32_e32 vcc_lo, v8, v10
	v_lshl_or_b32 v10, v7, 12, v2
	v_cndmask_b32_e64 v8, 0, 1, vcc_lo
	v_cmp_ne_u32_e32 vcc_lo, v6, v11
	v_lshl_or_b32 v11, v9, 12, v4
	v_or_b32_e32 v8, v12, v8
	v_cndmask_b32_e64 v6, 0, 1, vcc_lo
	v_cmp_gt_i32_e32 vcc_lo, 1, v7
	v_or_b32_e32 v6, v13, v6
	v_cndmask_b32_e32 v8, v10, v8, vcc_lo
	v_cmp_gt_i32_e32 vcc_lo, 1, v9
	v_and_b32_e32 v10, 7, v8
	v_cndmask_b32_e32 v6, v11, v6, vcc_lo
	v_cmp_ne_u32_e32 vcc_lo, 0, v2
	v_lshrrev_b32_e32 v8, 2, v8
	v_cmp_eq_u32_e64 s0, 3, v10
	v_and_b32_e32 v11, 7, v6
	v_cndmask_b32_e64 v2, 0, 1, vcc_lo
	v_cmp_ne_u32_e32 vcc_lo, 0, v4
	v_lshrrev_b32_e32 v6, 2, v6
	v_cmp_lt_i32_e64 s1, 5, v11
	v_cmp_eq_u32_e64 s2, 3, v11
	v_cndmask_b32_e64 v4, 0, 1, vcc_lo
	v_cmp_lt_i32_e32 vcc_lo, 5, v10
	v_lshl_or_b32 v2, v2, 9, 0x7c00
	v_lshl_or_b32 v4, v4, 9, 0x7c00
	s_or_b32 vcc_lo, s0, vcc_lo
	v_add_co_ci_u32_e32 v8, vcc_lo, 0, v8, vcc_lo
	s_or_b32 vcc_lo, s2, s1
	v_add_co_ci_u32_e32 v6, vcc_lo, 0, v6, vcc_lo
	v_cmp_gt_i32_e32 vcc_lo, 31, v7
	v_cndmask_b32_e32 v8, 0x7c00, v8, vcc_lo
	v_cmp_gt_i32_e32 vcc_lo, 31, v9
	v_cndmask_b32_e32 v6, 0x7c00, v6, vcc_lo
	v_cmp_eq_u32_e32 vcc_lo, 0x40f, v7
	v_cndmask_b32_e32 v2, v8, v2, vcc_lo
	v_cmp_eq_u32_e32 vcc_lo, 0x40f, v9
	v_and_or_b32 v3, 0x8000, v3, v2
	v_cndmask_b32_e32 v4, v6, v4, vcc_lo
	v_mad_u64_u32 v[1:2], null, 0xc8, s9, v[1:2]
	v_and_b32_e32 v3, 0xffff, v3
	v_and_or_b32 v2, 0x8000, v5, v4
	v_lshl_or_b32 v2, v2, 16, v3
	global_store_dword v[0:1], v2, off
.LBB0_15:
	s_endpgm
	.section	.rodata,"a",@progbits
	.p2align	6, 0x0
	.amdhsa_kernel bluestein_single_fwd_len325_dim1_half_op_CI_CI
		.amdhsa_group_segment_fixed_size 5200
		.amdhsa_private_segment_fixed_size 0
		.amdhsa_kernarg_size 104
		.amdhsa_user_sgpr_count 6
		.amdhsa_user_sgpr_private_segment_buffer 1
		.amdhsa_user_sgpr_dispatch_ptr 0
		.amdhsa_user_sgpr_queue_ptr 0
		.amdhsa_user_sgpr_kernarg_segment_ptr 1
		.amdhsa_user_sgpr_dispatch_id 0
		.amdhsa_user_sgpr_flat_scratch_init 0
		.amdhsa_user_sgpr_private_segment_size 0
		.amdhsa_wavefront_size32 1
		.amdhsa_uses_dynamic_stack 0
		.amdhsa_system_sgpr_private_segment_wavefront_offset 0
		.amdhsa_system_sgpr_workgroup_id_x 1
		.amdhsa_system_sgpr_workgroup_id_y 0
		.amdhsa_system_sgpr_workgroup_id_z 0
		.amdhsa_system_sgpr_workgroup_info 0
		.amdhsa_system_vgpr_workitem_id 0
		.amdhsa_next_free_vgpr 186
		.amdhsa_next_free_sgpr 18
		.amdhsa_reserve_vcc 1
		.amdhsa_reserve_flat_scratch 0
		.amdhsa_float_round_mode_32 0
		.amdhsa_float_round_mode_16_64 0
		.amdhsa_float_denorm_mode_32 3
		.amdhsa_float_denorm_mode_16_64 3
		.amdhsa_dx10_clamp 1
		.amdhsa_ieee_mode 1
		.amdhsa_fp16_overflow 0
		.amdhsa_workgroup_processor_mode 1
		.amdhsa_memory_ordered 1
		.amdhsa_forward_progress 0
		.amdhsa_shared_vgpr_count 0
		.amdhsa_exception_fp_ieee_invalid_op 0
		.amdhsa_exception_fp_denorm_src 0
		.amdhsa_exception_fp_ieee_div_zero 0
		.amdhsa_exception_fp_ieee_overflow 0
		.amdhsa_exception_fp_ieee_underflow 0
		.amdhsa_exception_fp_ieee_inexact 0
		.amdhsa_exception_int_div_zero 0
	.end_amdhsa_kernel
	.text
.Lfunc_end0:
	.size	bluestein_single_fwd_len325_dim1_half_op_CI_CI, .Lfunc_end0-bluestein_single_fwd_len325_dim1_half_op_CI_CI
                                        ; -- End function
	.section	.AMDGPU.csdata,"",@progbits
; Kernel info:
; codeLenInByte = 43348
; NumSgprs: 20
; NumVgprs: 186
; ScratchSize: 0
; MemoryBound: 0
; FloatMode: 240
; IeeeMode: 1
; LDSByteSize: 5200 bytes/workgroup (compile time only)
; SGPRBlocks: 2
; VGPRBlocks: 23
; NumSGPRsForWavesPerEU: 20
; NumVGPRsForWavesPerEU: 186
; Occupancy: 5
; WaveLimiterHint : 1
; COMPUTE_PGM_RSRC2:SCRATCH_EN: 0
; COMPUTE_PGM_RSRC2:USER_SGPR: 6
; COMPUTE_PGM_RSRC2:TRAP_HANDLER: 0
; COMPUTE_PGM_RSRC2:TGID_X_EN: 1
; COMPUTE_PGM_RSRC2:TGID_Y_EN: 0
; COMPUTE_PGM_RSRC2:TGID_Z_EN: 0
; COMPUTE_PGM_RSRC2:TIDIG_COMP_CNT: 0
	.text
	.p2alignl 6, 3214868480
	.fill 48, 4, 3214868480
	.type	__hip_cuid_8e0a1a56f6dfadae,@object ; @__hip_cuid_8e0a1a56f6dfadae
	.section	.bss,"aw",@nobits
	.globl	__hip_cuid_8e0a1a56f6dfadae
__hip_cuid_8e0a1a56f6dfadae:
	.byte	0                               ; 0x0
	.size	__hip_cuid_8e0a1a56f6dfadae, 1

	.ident	"AMD clang version 19.0.0git (https://github.com/RadeonOpenCompute/llvm-project roc-6.4.0 25133 c7fe45cf4b819c5991fe208aaa96edf142730f1d)"
	.section	".note.GNU-stack","",@progbits
	.addrsig
	.addrsig_sym __hip_cuid_8e0a1a56f6dfadae
	.amdgpu_metadata
---
amdhsa.kernels:
  - .args:
      - .actual_access:  read_only
        .address_space:  global
        .offset:         0
        .size:           8
        .value_kind:     global_buffer
      - .actual_access:  read_only
        .address_space:  global
        .offset:         8
        .size:           8
        .value_kind:     global_buffer
      - .actual_access:  read_only
        .address_space:  global
        .offset:         16
        .size:           8
        .value_kind:     global_buffer
      - .actual_access:  read_only
        .address_space:  global
        .offset:         24
        .size:           8
        .value_kind:     global_buffer
      - .actual_access:  read_only
        .address_space:  global
        .offset:         32
        .size:           8
        .value_kind:     global_buffer
      - .offset:         40
        .size:           8
        .value_kind:     by_value
      - .address_space:  global
        .offset:         48
        .size:           8
        .value_kind:     global_buffer
      - .address_space:  global
        .offset:         56
        .size:           8
        .value_kind:     global_buffer
      - .address_space:  global
        .offset:         64
        .size:           8
        .value_kind:     global_buffer
      - .address_space:  global
        .offset:         72
        .size:           8
        .value_kind:     global_buffer
      - .offset:         80
        .size:           4
        .value_kind:     by_value
      - .address_space:  global
        .offset:         88
        .size:           8
        .value_kind:     global_buffer
      - .address_space:  global
        .offset:         96
        .size:           8
        .value_kind:     global_buffer
    .group_segment_fixed_size: 5200
    .kernarg_segment_align: 8
    .kernarg_segment_size: 104
    .language:       OpenCL C
    .language_version:
      - 2
      - 0
    .max_flat_workgroup_size: 52
    .name:           bluestein_single_fwd_len325_dim1_half_op_CI_CI
    .private_segment_fixed_size: 0
    .sgpr_count:     20
    .sgpr_spill_count: 0
    .symbol:         bluestein_single_fwd_len325_dim1_half_op_CI_CI.kd
    .uniform_work_group_size: 1
    .uses_dynamic_stack: false
    .vgpr_count:     186
    .vgpr_spill_count: 0
    .wavefront_size: 32
    .workgroup_processor_mode: 1
amdhsa.target:   amdgcn-amd-amdhsa--gfx1030
amdhsa.version:
  - 1
  - 2
...

	.end_amdgpu_metadata
